;; amdgpu-corpus repo=ROCm/rocFFT kind=compiled arch=gfx950 opt=O3
	.text
	.amdgcn_target "amdgcn-amd-amdhsa--gfx950"
	.amdhsa_code_object_version 6
	.protected	fft_rtc_back_len1512_factors_2_2_2_3_3_3_7_wgs_63_tpt_63_halfLds_sp_ip_CI_unitstride_sbrr_R2C_dirReg ; -- Begin function fft_rtc_back_len1512_factors_2_2_2_3_3_3_7_wgs_63_tpt_63_halfLds_sp_ip_CI_unitstride_sbrr_R2C_dirReg
	.globl	fft_rtc_back_len1512_factors_2_2_2_3_3_3_7_wgs_63_tpt_63_halfLds_sp_ip_CI_unitstride_sbrr_R2C_dirReg
	.p2align	8
	.type	fft_rtc_back_len1512_factors_2_2_2_3_3_3_7_wgs_63_tpt_63_halfLds_sp_ip_CI_unitstride_sbrr_R2C_dirReg,@function
fft_rtc_back_len1512_factors_2_2_2_3_3_3_7_wgs_63_tpt_63_halfLds_sp_ip_CI_unitstride_sbrr_R2C_dirReg: ; @fft_rtc_back_len1512_factors_2_2_2_3_3_3_7_wgs_63_tpt_63_halfLds_sp_ip_CI_unitstride_sbrr_R2C_dirReg
; %bb.0:
	s_load_dwordx2 s[8:9], s[0:1], 0x50
	s_load_dwordx4 s[4:7], s[0:1], 0x0
	s_load_dwordx2 s[10:11], s[0:1], 0x18
	v_mul_u32_u24_e32 v1, 0x411, v0
	v_add_u32_sdwa v6, s2, v1 dst_sel:DWORD dst_unused:UNUSED_PAD src0_sel:DWORD src1_sel:WORD_1
	v_mov_b32_e32 v4, 0
	s_waitcnt lgkmcnt(0)
	v_cmp_lt_u64_e64 s[2:3], s[6:7], 2
	v_mov_b32_e32 v7, v4
	s_and_b64 vcc, exec, s[2:3]
	v_mov_b64_e32 v[2:3], 0
	s_cbranch_vccnz .LBB0_8
; %bb.1:
	s_load_dwordx2 s[2:3], s[0:1], 0x10
	s_add_u32 s12, s10, 8
	s_addc_u32 s13, s11, 0
	s_mov_b64 s[14:15], 1
	v_mov_b64_e32 v[2:3], 0
	s_waitcnt lgkmcnt(0)
	s_add_u32 s16, s2, 8
	s_addc_u32 s17, s3, 0
.LBB0_2:                                ; =>This Inner Loop Header: Depth=1
	s_load_dwordx2 s[18:19], s[16:17], 0x0
                                        ; implicit-def: $vgpr8_vgpr9
	s_waitcnt lgkmcnt(0)
	v_or_b32_e32 v5, s19, v7
	v_cmp_ne_u64_e32 vcc, 0, v[4:5]
	s_and_saveexec_b64 s[2:3], vcc
	s_xor_b64 s[20:21], exec, s[2:3]
	s_cbranch_execz .LBB0_4
; %bb.3:                                ;   in Loop: Header=BB0_2 Depth=1
	v_cvt_f32_u32_e32 v1, s18
	v_cvt_f32_u32_e32 v5, s19
	s_sub_u32 s2, 0, s18
	s_subb_u32 s3, 0, s19
	v_fmac_f32_e32 v1, 0x4f800000, v5
	v_rcp_f32_e32 v1, v1
	s_nop 0
	v_mul_f32_e32 v1, 0x5f7ffffc, v1
	v_mul_f32_e32 v5, 0x2f800000, v1
	v_trunc_f32_e32 v5, v5
	v_fmac_f32_e32 v1, 0xcf800000, v5
	v_cvt_u32_f32_e32 v5, v5
	v_cvt_u32_f32_e32 v1, v1
	v_mul_lo_u32 v8, s2, v5
	v_mul_hi_u32 v10, s2, v1
	v_mul_lo_u32 v9, s3, v1
	v_add_u32_e32 v10, v10, v8
	v_mul_lo_u32 v12, s2, v1
	v_add_u32_e32 v13, v10, v9
	v_mul_hi_u32 v8, v1, v12
	v_mul_hi_u32 v11, v1, v13
	v_mul_lo_u32 v10, v1, v13
	v_mov_b32_e32 v9, v4
	v_lshl_add_u64 v[8:9], v[8:9], 0, v[10:11]
	v_mul_hi_u32 v11, v5, v12
	v_mul_lo_u32 v12, v5, v12
	v_add_co_u32_e32 v8, vcc, v8, v12
	v_mul_hi_u32 v10, v5, v13
	s_nop 0
	v_addc_co_u32_e32 v8, vcc, v9, v11, vcc
	v_mov_b32_e32 v9, v4
	s_nop 0
	v_addc_co_u32_e32 v11, vcc, 0, v10, vcc
	v_mul_lo_u32 v10, v5, v13
	v_lshl_add_u64 v[8:9], v[8:9], 0, v[10:11]
	v_add_co_u32_e32 v1, vcc, v1, v8
	v_mul_lo_u32 v10, s2, v1
	s_nop 0
	v_addc_co_u32_e32 v5, vcc, v5, v9, vcc
	v_mul_lo_u32 v8, s2, v5
	v_mul_hi_u32 v9, s2, v1
	v_add_u32_e32 v8, v9, v8
	v_mul_lo_u32 v9, s3, v1
	v_add_u32_e32 v12, v8, v9
	v_mul_hi_u32 v14, v5, v10
	v_mul_lo_u32 v15, v5, v10
	v_mul_hi_u32 v9, v1, v12
	v_mul_lo_u32 v8, v1, v12
	v_mul_hi_u32 v10, v1, v10
	v_mov_b32_e32 v11, v4
	v_lshl_add_u64 v[8:9], v[10:11], 0, v[8:9]
	v_add_co_u32_e32 v8, vcc, v8, v15
	v_mul_hi_u32 v13, v5, v12
	s_nop 0
	v_addc_co_u32_e32 v8, vcc, v9, v14, vcc
	v_mul_lo_u32 v10, v5, v12
	s_nop 0
	v_addc_co_u32_e32 v11, vcc, 0, v13, vcc
	v_mov_b32_e32 v9, v4
	v_lshl_add_u64 v[8:9], v[8:9], 0, v[10:11]
	v_add_co_u32_e32 v1, vcc, v1, v8
	v_mul_hi_u32 v10, v6, v1
	s_nop 0
	v_addc_co_u32_e32 v5, vcc, v5, v9, vcc
	v_mad_u64_u32 v[8:9], s[2:3], v6, v5, 0
	v_mov_b32_e32 v11, v4
	v_lshl_add_u64 v[8:9], v[10:11], 0, v[8:9]
	v_mad_u64_u32 v[12:13], s[2:3], v7, v1, 0
	v_add_co_u32_e32 v1, vcc, v8, v12
	v_mad_u64_u32 v[10:11], s[2:3], v7, v5, 0
	s_nop 0
	v_addc_co_u32_e32 v8, vcc, v9, v13, vcc
	v_mov_b32_e32 v9, v4
	s_nop 0
	v_addc_co_u32_e32 v11, vcc, 0, v11, vcc
	v_lshl_add_u64 v[8:9], v[8:9], 0, v[10:11]
	v_mul_lo_u32 v1, s19, v8
	v_mul_lo_u32 v5, s18, v9
	v_mad_u64_u32 v[10:11], s[2:3], s18, v8, 0
	v_add3_u32 v1, v11, v5, v1
	v_sub_u32_e32 v5, v7, v1
	v_mov_b32_e32 v11, s19
	v_sub_co_u32_e32 v14, vcc, v6, v10
	v_lshl_add_u64 v[12:13], v[8:9], 0, 1
	s_nop 0
	v_subb_co_u32_e64 v5, s[2:3], v5, v11, vcc
	v_subrev_co_u32_e64 v10, s[2:3], s18, v14
	v_subb_co_u32_e32 v1, vcc, v7, v1, vcc
	s_nop 0
	v_subbrev_co_u32_e64 v5, s[2:3], 0, v5, s[2:3]
	v_cmp_le_u32_e64 s[2:3], s19, v5
	v_cmp_le_u32_e32 vcc, s19, v1
	s_nop 0
	v_cndmask_b32_e64 v11, 0, -1, s[2:3]
	v_cmp_le_u32_e64 s[2:3], s18, v10
	s_nop 1
	v_cndmask_b32_e64 v10, 0, -1, s[2:3]
	v_cmp_eq_u32_e64 s[2:3], s19, v5
	s_nop 1
	v_cndmask_b32_e64 v5, v11, v10, s[2:3]
	v_lshl_add_u64 v[10:11], v[8:9], 0, 2
	v_cmp_ne_u32_e64 s[2:3], 0, v5
	s_nop 1
	v_cndmask_b32_e64 v5, v13, v11, s[2:3]
	v_cndmask_b32_e64 v11, 0, -1, vcc
	v_cmp_le_u32_e32 vcc, s18, v14
	s_nop 1
	v_cndmask_b32_e64 v13, 0, -1, vcc
	v_cmp_eq_u32_e32 vcc, s19, v1
	s_nop 1
	v_cndmask_b32_e32 v1, v11, v13, vcc
	v_cmp_ne_u32_e32 vcc, 0, v1
	v_cndmask_b32_e64 v1, v12, v10, s[2:3]
	s_nop 0
	v_cndmask_b32_e32 v9, v9, v5, vcc
	v_cndmask_b32_e32 v8, v8, v1, vcc
.LBB0_4:                                ;   in Loop: Header=BB0_2 Depth=1
	s_andn2_saveexec_b64 s[2:3], s[20:21]
	s_cbranch_execz .LBB0_6
; %bb.5:                                ;   in Loop: Header=BB0_2 Depth=1
	v_cvt_f32_u32_e32 v1, s18
	s_sub_i32 s20, 0, s18
	v_rcp_iflag_f32_e32 v1, v1
	s_nop 0
	v_mul_f32_e32 v1, 0x4f7ffffe, v1
	v_cvt_u32_f32_e32 v1, v1
	v_mul_lo_u32 v5, s20, v1
	v_mul_hi_u32 v5, v1, v5
	v_add_u32_e32 v1, v1, v5
	v_mul_hi_u32 v1, v6, v1
	v_mul_lo_u32 v5, v1, s18
	v_sub_u32_e32 v5, v6, v5
	v_add_u32_e32 v8, 1, v1
	v_subrev_u32_e32 v9, s18, v5
	v_cmp_le_u32_e32 vcc, s18, v5
	s_nop 1
	v_cndmask_b32_e32 v5, v5, v9, vcc
	v_cndmask_b32_e32 v1, v1, v8, vcc
	v_add_u32_e32 v8, 1, v1
	v_cmp_le_u32_e32 vcc, s18, v5
	v_mov_b32_e32 v9, v4
	s_nop 0
	v_cndmask_b32_e32 v8, v1, v8, vcc
.LBB0_6:                                ;   in Loop: Header=BB0_2 Depth=1
	s_or_b64 exec, exec, s[2:3]
	v_mad_u64_u32 v[10:11], s[2:3], v8, s18, 0
	s_load_dwordx2 s[2:3], s[12:13], 0x0
	v_mul_lo_u32 v1, v9, s18
	v_mul_lo_u32 v5, v8, s19
	v_add3_u32 v1, v11, v5, v1
	v_sub_co_u32_e32 v5, vcc, v6, v10
	s_add_u32 s14, s14, 1
	s_nop 0
	v_subb_co_u32_e32 v1, vcc, v7, v1, vcc
	s_addc_u32 s15, s15, 0
	s_waitcnt lgkmcnt(0)
	v_mul_lo_u32 v1, s2, v1
	v_mul_lo_u32 v6, s3, v5
	v_mad_u64_u32 v[2:3], s[2:3], s2, v5, v[2:3]
	s_add_u32 s12, s12, 8
	v_add3_u32 v3, v6, v3, v1
	s_addc_u32 s13, s13, 0
	v_mov_b64_e32 v[6:7], s[6:7]
	s_add_u32 s16, s16, 8
	v_cmp_ge_u64_e32 vcc, s[14:15], v[6:7]
	s_addc_u32 s17, s17, 0
	s_cbranch_vccnz .LBB0_9
; %bb.7:                                ;   in Loop: Header=BB0_2 Depth=1
	v_mov_b64_e32 v[6:7], v[8:9]
	s_branch .LBB0_2
.LBB0_8:
	v_mov_b64_e32 v[8:9], v[6:7]
.LBB0_9:
	s_lshl_b64 s[2:3], s[6:7], 3
	s_add_u32 s2, s10, s2
	s_addc_u32 s3, s11, s3
	s_load_dwordx2 s[6:7], s[2:3], 0x0
	s_load_dwordx2 s[10:11], s[0:1], 0x20
	s_mov_b32 s2, 0x4104105
                                        ; implicit-def: $vgpr62_vgpr63
                                        ; implicit-def: $vgpr64_vgpr65
                                        ; implicit-def: $vgpr72
                                        ; implicit-def: $vgpr70
                                        ; implicit-def: $vgpr60
                                        ; implicit-def: $vgpr58
                                        ; implicit-def: $vgpr56
                                        ; implicit-def: $vgpr54
                                        ; implicit-def: $vgpr68
                                        ; implicit-def: $vgpr66
	s_waitcnt lgkmcnt(0)
	v_mul_lo_u32 v1, s6, v9
	v_mul_lo_u32 v4, s7, v8
	v_mad_u64_u32 v[2:3], s[0:1], s6, v8, v[2:3]
	v_add3_u32 v3, v4, v3, v1
	v_mul_hi_u32 v1, v0, s2
	v_mul_u32_u24_e32 v1, 63, v1
	v_sub_u32_e32 v48, v0, v1
	v_cmp_gt_u64_e32 vcc, s[10:11], v[8:9]
	v_cmp_le_u64_e64 s[0:1], s[10:11], v[8:9]
	v_add_u32_e32 v50, 63, v48
	s_and_saveexec_b64 s[2:3], s[0:1]
	s_xor_b64 s[0:1], exec, s[2:3]
	s_cbranch_execz .LBB0_11
; %bb.10:
	v_add_u32_e32 v65, 0x13b, v48
	v_add_u32_e32 v63, 0x1b9, v48
	;; [unrolled: 1-line block ×11, first 2 shown]
	v_mov_b32_e32 v68, v65
	v_mov_b32_e32 v66, v63
.LBB0_11:
	s_or_saveexec_b64 s[2:3], s[0:1]
	v_lshl_add_u64 v[52:53], v[2:3], 3, s[8:9]
	s_xor_b64 exec, exec, s[2:3]
	s_cbranch_execz .LBB0_13
; %bb.12:
	v_mov_b32_e32 v49, 0
	v_add_u32_e32 v65, 0x13b, v48
	v_add_u32_e32 v64, 0xfc, v48
	;; [unrolled: 1-line block ×3, first 2 shown]
	v_mov_b32_e32 v10, v64
	v_mov_b32_e32 v11, v49
	;; [unrolled: 1-line block ×6, first 2 shown]
	v_lshl_add_u64 v[0:1], v[48:49], 3, v[52:53]
	v_lshl_add_u64 v[10:11], v[10:11], 3, v[52:53]
	;; [unrolled: 1-line block ×4, first 2 shown]
	s_movk_i32 s0, 0x1000
	global_load_dwordx2 v[2:3], v[0:1], off
	global_load_dwordx2 v[4:5], v[0:1], off offset:504
	global_load_dwordx2 v[6:7], v[0:1], off offset:1008
	;; [unrolled: 1-line block ×3, first 2 shown]
	v_add_u32_e32 v63, 0x1b9, v48
	global_load_dwordx2 v[14:15], v[14:15], off
	s_nop 0
	global_load_dwordx2 v[18:19], v[12:13], off
	global_load_dwordx2 v[20:21], v[10:11], off
	global_load_dwordx2 v[22:23], v[0:1], off offset:4032
	v_add_co_u32_e64 v10, s[0:1], s0, v0
	v_mov_b32_e32 v16, v63
	s_nop 0
	v_addc_co_u32_e64 v11, s[0:1], 0, v1, s[0:1]
	v_mov_b32_e32 v17, v49
	s_movk_i32 s0, 0x2000
	v_lshl_add_u64 v[16:17], v[16:17], 3, v[52:53]
	v_add_co_u32_e64 v0, s[0:1], s0, v0
	global_load_dwordx2 v[12:13], v[16:17], off
	global_load_dwordx2 v[24:25], v[10:11], off offset:440
	global_load_dwordx2 v[26:27], v[10:11], off offset:944
	;; [unrolled: 1-line block ×7, first 2 shown]
	v_addc_co_u32_e64 v1, s[0:1], 0, v1, s[0:1]
	global_load_dwordx2 v[16:17], v[10:11], off offset:3968
	global_load_dwordx2 v[38:39], v[0:1], off offset:376
	;; [unrolled: 1-line block ×8, first 2 shown]
	v_lshl_add_u32 v0, v48, 3, 0
	v_add_u32_e32 v72, 0x7e, v48
	v_add_u32_e32 v70, 0xbd, v48
	;; [unrolled: 1-line block ×6, first 2 shown]
	v_lshl_add_u32 v1, v64, 3, 0
	v_lshl_add_u32 v10, v65, 3, 0
	;; [unrolled: 1-line block ×4, first 2 shown]
	v_add_u32_e32 v51, 0xc00, v0
	v_add_u32_e32 v55, 0x1000, v0
	;; [unrolled: 1-line block ×8, first 2 shown]
	s_waitcnt vmcnt(22)
	ds_write2_b64 v0, v[2:3], v[4:5] offset1:63
	s_waitcnt vmcnt(20)
	ds_write2_b64 v0, v[6:7], v[8:9] offset0:126 offset1:189
	s_waitcnt vmcnt(17)
	ds_write_b64 v1, v[20:21]
	ds_write_b64 v10, v[18:19]
	;; [unrolled: 1-line block ×3, first 2 shown]
	s_waitcnt vmcnt(15)
	ds_write_b64 v49, v[12:13]
	s_waitcnt vmcnt(14)
	ds_write2_b64 v51, v[22:23], v[24:25] offset0:120 offset1:183
	s_waitcnt vmcnt(12)
	ds_write2_b64 v55, v[26:27], v[28:29] offset0:118 offset1:181
	;; [unrolled: 2-line block ×8, first 2 shown]
	v_mov_b32_e32 v66, v63
	v_mov_b32_e32 v68, v65
.LBB0_13:
	s_or_b64 exec, exec, s[2:3]
	v_lshlrev_b32_e32 v49, 3, v48
	v_add_u32_e32 v92, 0, v49
	s_waitcnt lgkmcnt(0)
	; wave barrier
	s_waitcnt lgkmcnt(0)
	v_add_u32_e32 v1, 0xc00, v92
	ds_read2_b64 v[40:43], v92 offset1:63
	v_add_u32_e32 v6, 0x1000, v92
	v_add_u32_e32 v5, 0x2800, v92
	ds_read2_b64 v[20:23], v1 offset0:120 offset1:183
	v_add_u32_e32 v1, 0x2400, v92
	v_add_u32_e32 v8, 0x800, v92
	;; [unrolled: 1-line block ×6, first 2 shown]
	ds_read2_b64 v[12:15], v6 offset0:118 offset1:181
	ds_read2_b64 v[16:19], v5 offset0:106 offset1:169
	;; [unrolled: 1-line block ×6, first 2 shown]
	v_add_u32_e32 v9, 0x1c00, v92
	ds_read2_b64 v[44:47], v10 offset0:116 offset1:179
	ds_read2_b64 v[74:77], v9 offset0:112 offset1:175
	;; [unrolled: 1-line block ×4, first 2 shown]
	v_add_u32_e32 v0, v92, v49
	s_waitcnt lgkmcnt(3)
	v_pk_add_f32 v[2:3], v[40:41], v[44:45] neg_lo:[0,1] neg_hi:[0,1]
	v_pk_add_f32 v[46:47], v[42:43], v[46:47] neg_lo:[0,1] neg_hi:[0,1]
	v_pk_fma_f32 v[40:41], v[40:41], 2.0, v[2:3] op_sel_hi:[1,0,1] neg_lo:[0,0,1] neg_hi:[0,0,1]
	v_and_b32_e32 v124, 1, v54
	v_lshl_add_u32 v69, v50, 4, 0
	s_waitcnt lgkmcnt(0)
	; wave barrier
	s_waitcnt lgkmcnt(0)
	ds_write2_b64 v0, v[40:41], v[2:3] offset1:1
	v_pk_add_f32 v[2:3], v[14:15], v[18:19] neg_lo:[0,1] neg_hi:[0,1]
	v_pk_add_f32 v[16:17], v[12:13], v[16:17] neg_lo:[0,1] neg_hi:[0,1]
	;; [unrolled: 1-line block ×10, first 2 shown]
	v_pk_fma_f32 v[42:43], v[42:43], 2.0, v[46:47] op_sel_hi:[1,0,1] neg_lo:[0,0,1] neg_hi:[0,0,1]
	v_lshlrev_b32_e32 v0, 3, v124
	v_and_b32_e32 v125, 1, v58
	v_lshl_add_u32 v51, v72, 4, 0
	v_lshl_add_u32 v4, v70, 4, 0
	;; [unrolled: 1-line block ×7, first 2 shown]
	v_pk_fma_f32 v[14:15], v[14:15], 2.0, v[2:3] op_sel_hi:[1,0,1] neg_lo:[0,0,1] neg_hi:[0,0,1]
	v_pk_fma_f32 v[12:13], v[12:13], 2.0, v[16:17] op_sel_hi:[1,0,1] neg_lo:[0,0,1] neg_hi:[0,0,1]
	;; [unrolled: 1-line block ×10, first 2 shown]
	v_lshl_add_u32 v95, v58, 4, 0
	v_lshl_add_u32 v94, v56, 4, 0
	;; [unrolled: 1-line block ×3, first 2 shown]
	ds_write2_b64 v69, v[42:43], v[46:47] offset1:1
	ds_write2_b64 v51, v[78:79], v[74:75] offset1:1
	;; [unrolled: 1-line block ×11, first 2 shown]
	s_waitcnt lgkmcnt(0)
	; wave barrier
	s_waitcnt lgkmcnt(0)
	global_load_dwordx2 v[2:3], v0, s[4:5]
	v_lshlrev_b32_e32 v0, 3, v125
	global_load_dwordx2 v[24:25], v0, s[4:5]
	v_and_b32_e32 v126, 1, v70
	v_lshlrev_b32_e32 v0, 3, v126
	v_and_b32_e32 v127, 1, v48
	global_load_dwordx2 v[28:29], v0, s[4:5]
	v_lshlrev_b32_e32 v0, 3, v127
	global_load_dwordx2 v[30:31], v0, s[4:5]
	v_and_b32_e32 v128, 1, v66
	v_lshlrev_b32_e32 v0, 3, v128
	global_load_dwordx2 v[32:33], v0, s[4:5]
	v_and_b32_e32 v129, 1, v68
	;; [unrolled: 3-line block ×3, first 2 shown]
	v_lshlrev_b32_e32 v0, 3, v130
	global_load_dwordx2 v[36:37], v0, s[4:5]
	ds_read2_b64 v[12:15], v5 offset0:106 offset1:169
	ds_read2_b64 v[16:19], v1 offset0:108 offset1:171
	;; [unrolled: 1-line block ×3, first 2 shown]
	v_lshlrev_b32_e32 v85, 3, v70
	v_lshlrev_b32_e32 v84, 3, v72
	v_lshl_add_u32 v96, v50, 3, 0
	s_movk_i32 s0, 0x7c
	v_lshlrev_b32_e32 v0, 1, v48
	v_lshlrev_b32_e32 v98, 3, v54
	;; [unrolled: 1-line block ×9, first 2 shown]
	v_sub_u32_e32 v133, v93, v98
	v_sub_u32_e32 v131, v95, v100
	;; [unrolled: 1-line block ×3, first 2 shown]
	v_lshlrev_b32_e32 v134, 1, v70
	s_movk_i32 s1, 0x2fc
	v_lshlrev_b32_e32 v135, 1, v68
	v_lshlrev_b32_e32 v136, 1, v66
	;; [unrolled: 1-line block ×5, first 2 shown]
	v_and_b32_e32 v140, 3, v56
	v_and_b32_e32 v141, 3, v66
	;; [unrolled: 1-line block ×9, first 2 shown]
	s_mov_b32 s2, 0x3f5db3d7
	s_waitcnt vmcnt(6) lgkmcnt(2)
	v_pk_mul_f32 v[26:27], v[14:15], v[2:3] op_sel:[0,1]
	s_nop 0
	v_pk_fma_f32 v[38:39], v[14:15], v[2:3], v[26:27] op_sel:[0,0,1] op_sel_hi:[1,1,0]
	v_pk_fma_f32 v[2:3], v[14:15], v[2:3], v[26:27] op_sel:[0,0,1] op_sel_hi:[1,0,0] neg_lo:[0,0,1] neg_hi:[0,0,1]
	s_waitcnt vmcnt(5) lgkmcnt(1)
	v_pk_mul_f32 v[14:15], v[18:19], v[24:25] op_sel:[0,1]
	v_and_or_b32 v2, v0, s0, v127
	v_pk_fma_f32 v[40:41], v[18:19], v[24:25], v[14:15] op_sel:[0,0,1] op_sel_hi:[1,1,0]
	v_pk_fma_f32 v[42:43], v[18:19], v[24:25], v[14:15] op_sel:[0,0,1] op_sel_hi:[1,0,0] neg_lo:[0,0,1] neg_hi:[0,0,1]
	ds_read2_b64 v[24:27], v7 offset0:110 offset1:173
	s_waitcnt vmcnt(4) lgkmcnt(1)
	v_pk_mul_f32 v[14:15], v[22:23], v[28:29] op_sel:[0,1]
	v_lshl_add_u32 v2, v2, 3, 0
	v_pk_fma_f32 v[44:45], v[22:23], v[28:29], v[14:15] op_sel:[0,0,1] op_sel_hi:[1,1,0]
	v_pk_fma_f32 v[22:23], v[22:23], v[28:29], v[14:15] op_sel:[0,0,1] op_sel_hi:[1,0,0] neg_lo:[0,0,1] neg_hi:[0,0,1]
	s_waitcnt vmcnt(3)
	v_pk_mul_f32 v[14:15], v[30:31], v[20:21] op_sel:[0,1]
	s_movk_i32 s0, 0xfc
	v_pk_fma_f32 v[28:29], v[30:31], v[20:21], v[14:15] op_sel:[0,0,1] op_sel_hi:[1,1,0]
	v_pk_fma_f32 v[20:21], v[30:31], v[20:21], v[14:15] op_sel:[0,0,1] op_sel_hi:[1,0,0] neg_lo:[1,0,0] neg_hi:[1,0,0]
	v_pk_mul_f32 v[14:15], v[12:13], v[30:31] op_sel:[0,1]
	v_mov_b32_e32 v29, v21
	v_pk_fma_f32 v[46:47], v[12:13], v[30:31], v[14:15] op_sel:[0,0,1] op_sel_hi:[1,1,0]
	v_pk_fma_f32 v[74:75], v[12:13], v[30:31], v[14:15] op_sel:[0,0,1] op_sel_hi:[1,0,0] neg_lo:[0,0,1] neg_hi:[0,0,1]
	v_pk_mul_f32 v[12:13], v[16:17], v[30:31] op_sel:[0,1]
	v_mov_b32_e32 v45, v23
	v_pk_fma_f32 v[76:77], v[16:17], v[30:31], v[12:13] op_sel:[0,0,1] op_sel_hi:[1,1,0]
	v_pk_fma_f32 v[78:79], v[16:17], v[30:31], v[12:13] op_sel:[0,0,1] op_sel_hi:[1,0,0] neg_lo:[0,0,1] neg_hi:[0,0,1]
	s_waitcnt vmcnt(2) lgkmcnt(0)
	v_pk_mul_f32 v[16:17], v[26:27], v[32:33] op_sel:[0,1]
	ds_read2_b64 v[12:15], v9 offset0:112 offset1:175
	v_pk_fma_f32 v[80:81], v[26:27], v[32:33], v[16:17] op_sel:[0,0,1] op_sel_hi:[1,1,0]
	v_pk_fma_f32 v[26:27], v[26:27], v[32:33], v[16:17] op_sel:[0,0,1] op_sel_hi:[1,0,0] neg_lo:[0,0,1] neg_hi:[0,0,1]
	v_pk_mul_f32 v[16:17], v[24:25], v[30:31] op_sel:[0,1]
	v_mov_b32_e32 v81, v27
	v_pk_fma_f32 v[32:33], v[24:25], v[30:31], v[16:17] op_sel:[0,0,1] op_sel_hi:[1,1,0]
	v_pk_fma_f32 v[24:25], v[24:25], v[30:31], v[16:17] op_sel:[0,0,1] op_sel_hi:[1,0,0] neg_lo:[0,0,1] neg_hi:[0,0,1]
	ds_read2_b64 v[16:19], v10 offset0:116 offset1:179
	s_waitcnt vmcnt(1) lgkmcnt(1)
	v_pk_mul_f32 v[82:83], v[14:15], v[34:35] op_sel:[0,1]
	v_mov_b32_e32 v33, v25
	v_pk_fma_f32 v[86:87], v[14:15], v[34:35], v[82:83] op_sel:[0,0,1] op_sel_hi:[1,1,0]
	v_pk_fma_f32 v[34:35], v[14:15], v[34:35], v[82:83] op_sel:[0,0,1] op_sel_hi:[1,0,0] neg_lo:[0,0,1] neg_hi:[0,0,1]
	v_pk_mul_f32 v[14:15], v[12:13], v[30:31] op_sel:[0,1]
	v_mov_b32_e32 v87, v35
	v_pk_fma_f32 v[82:83], v[12:13], v[30:31], v[14:15] op_sel:[0,0,1] op_sel_hi:[1,1,0]
	v_pk_fma_f32 v[88:89], v[12:13], v[30:31], v[14:15] op_sel:[0,0,1] op_sel_hi:[1,0,0] neg_lo:[0,0,1] neg_hi:[0,0,1]
	s_waitcnt vmcnt(0) lgkmcnt(0)
	v_pk_mul_f32 v[12:13], v[36:37], v[18:19] op_sel:[0,1]
	v_mov_b32_e32 v83, v89
	v_pk_fma_f32 v[90:91], v[36:37], v[18:19], v[12:13] op_sel:[0,0,1] op_sel_hi:[1,1,0]
	v_pk_fma_f32 v[18:19], v[36:37], v[18:19], v[12:13] op_sel:[0,0,1] op_sel_hi:[1,0,0] neg_lo:[1,0,0] neg_hi:[1,0,0]
	v_pk_mul_f32 v[12:13], v[30:31], v[16:17] op_sel:[0,1]
	v_mov_b32_e32 v91, v19
	v_pk_fma_f32 v[14:15], v[30:31], v[16:17], v[12:13] op_sel:[0,0,1] op_sel_hi:[1,1,0]
	v_pk_fma_f32 v[12:13], v[30:31], v[16:17], v[12:13] op_sel:[0,0,1] op_sel_hi:[1,0,0] neg_lo:[1,0,0] neg_hi:[1,0,0]
	ds_read_b64 v[16:17], v92
	v_mov_b32_e32 v15, v13
	v_sub_u32_e32 v13, v4, v85
	v_sub_u32_e32 v12, v51, v84
	ds_read_b64 v[30:31], v13
	ds_read_b64 v[36:37], v12
	ds_read_b64 v[102:103], v96
	s_waitcnt lgkmcnt(3)
	v_pk_add_f32 v[104:105], v[16:17], v[14:15] neg_lo:[0,1] neg_hi:[0,1]
	v_lshlrev_b32_e32 v19, 1, v50
	v_pk_fma_f32 v[106:107], v[16:17], 2.0, v[104:105] op_sel_hi:[1,0,1] neg_lo:[0,0,1] neg_hi:[0,0,1]
	v_sub_u32_e32 v14, v61, v69
	v_sub_u32_e32 v15, v59, v71
	v_sub_u32_e32 v16, v67, v73
	v_sub_u32_e32 v17, v57, v97
	v_sub_u32_e32 v18, v55, v99
	ds_read_b64 v[108:109], v133
	ds_read_b64 v[110:111], v132
	;; [unrolled: 1-line block ×8, first 2 shown]
	s_waitcnt lgkmcnt(0)
	; wave barrier
	s_waitcnt lgkmcnt(0)
	ds_write2_b64 v2, v[106:107], v[104:105] offset1:2
	v_and_or_b32 v2, v19, s0, v130
	v_pk_add_f32 v[90:91], v[102:103], v[90:91] neg_lo:[0,1] neg_hi:[0,1]
	v_lshl_add_u32 v2, v2, 3, 0
	v_pk_fma_f32 v[102:103], v[102:103], 2.0, v[90:91] op_sel_hi:[1,0,1] neg_lo:[0,0,1] neg_hi:[0,0,1]
	s_movk_i32 s0, 0x1fc
	v_lshlrev_b32_e32 v130, 1, v72
	ds_write2_b64 v2, v[102:103], v[90:91] offset1:2
	v_and_or_b32 v2, v130, s0, v127
	v_pk_add_f32 v[20:21], v[36:37], v[28:29] neg_lo:[0,1] neg_hi:[0,1]
	v_lshl_add_u32 v2, v2, 3, 0
	v_pk_fma_f32 v[28:29], v[36:37], 2.0, v[20:21] op_sel_hi:[1,0,1] neg_lo:[0,0,1] neg_hi:[0,0,1]
	ds_write2_b64 v2, v[28:29], v[20:21] offset1:2
	v_and_or_b32 v2, v134, s0, v126
	v_pk_add_f32 v[20:21], v[30:31], v[44:45] neg_lo:[0,1] neg_hi:[0,1]
	v_lshl_add_u32 v2, v2, 3, 0
	v_pk_fma_f32 v[22:23], v[30:31], 2.0, v[20:21] op_sel_hi:[1,0,1] neg_lo:[0,0,1] neg_hi:[0,0,1]
	s_movk_i32 s0, 0x3fc
	v_lshlrev_b32_e32 v126, 1, v64
	ds_write2_b64 v2, v[22:23], v[20:21] offset1:2
	v_and_or_b32 v2, v126, s0, v127
	v_pk_add_f32 v[20:21], v[122:123], v[82:83] neg_lo:[0,1] neg_hi:[0,1]
	v_lshl_add_u32 v2, v2, 3, 0
	v_pk_fma_f32 v[22:23], v[122:123], 2.0, v[20:21] op_sel_hi:[1,0,1] neg_lo:[0,0,1] neg_hi:[0,0,1]
	ds_write2_b64 v2, v[22:23], v[20:21] offset1:2
	v_and_or_b32 v2, v135, s1, v129
	v_pk_add_f32 v[20:21], v[120:121], v[86:87] neg_lo:[0,1] neg_hi:[0,1]
	v_lshl_add_u32 v2, v2, 3, 0
	v_pk_fma_f32 v[22:23], v[120:121], 2.0, v[20:21] op_sel_hi:[1,0,1] neg_lo:[0,0,1] neg_hi:[0,0,1]
	v_lshlrev_b32_e32 v129, 1, v62
	ds_write2_b64 v2, v[22:23], v[20:21] offset1:2
	v_and_or_b32 v2, v129, s0, v127
	v_pk_add_f32 v[20:21], v[118:119], v[32:33] neg_lo:[0,1] neg_hi:[0,1]
	v_lshl_add_u32 v2, v2, 3, 0
	v_pk_fma_f32 v[22:23], v[118:119], 2.0, v[20:21] op_sel_hi:[1,0,1] neg_lo:[0,0,1] neg_hi:[0,0,1]
	ds_write2_b64 v2, v[22:23], v[20:21] offset1:2
	v_and_or_b32 v2, v136, s0, v128
	v_pk_add_f32 v[20:21], v[116:117], v[80:81] neg_lo:[0,1] neg_hi:[0,1]
	v_lshl_add_u32 v2, v2, 3, 0
	v_pk_fma_f32 v[22:23], v[116:117], 2.0, v[20:21] op_sel_hi:[1,0,1] neg_lo:[0,0,1] neg_hi:[0,0,1]
	v_mov_b32_e32 v77, v79
	s_movk_i32 s0, 0x7fc
	v_lshlrev_b32_e32 v128, 1, v60
	ds_write2_b64 v2, v[22:23], v[20:21] offset1:2
	v_and_or_b32 v2, v128, s0, v127
	v_pk_add_f32 v[20:21], v[114:115], v[76:77] neg_lo:[0,1] neg_hi:[0,1]
	v_lshl_add_u32 v2, v2, 3, 0
	v_pk_fma_f32 v[22:23], v[114:115], 2.0, v[20:21] op_sel_hi:[1,0,1] neg_lo:[0,0,1] neg_hi:[0,0,1]
	v_mov_b32_e32 v41, v43
	s_movk_i32 s0, 0x4fc
	ds_write2_b64 v2, v[22:23], v[20:21] offset1:2
	v_and_or_b32 v2, v137, s0, v125
	v_pk_add_f32 v[20:21], v[112:113], v[40:41] neg_lo:[0,1] neg_hi:[0,1]
	v_lshl_add_u32 v2, v2, 3, 0
	v_pk_fma_f32 v[22:23], v[112:113], 2.0, v[20:21] op_sel_hi:[1,0,1] neg_lo:[0,0,1] neg_hi:[0,0,1]
	s_movk_i32 s0, 0x5fc
	ds_write2_b64 v2, v[22:23], v[20:21] offset1:2
	v_and_or_b32 v2, v138, s0, v127
	v_mov_b32_e32 v47, v75
	v_lshl_add_u32 v26, v2, 3, 0
	v_and_or_b32 v2, v139, s0, v124
	v_mov_b32_e32 v39, v3
	v_pk_add_f32 v[22:23], v[110:111], v[46:47] neg_lo:[0,1] neg_hi:[0,1]
	v_lshl_add_u32 v27, v2, 3, 0
	v_pk_add_f32 v[2:3], v[108:109], v[38:39] neg_lo:[0,1] neg_hi:[0,1]
	v_pk_fma_f32 v[24:25], v[110:111], 2.0, v[22:23] op_sel_hi:[1,0,1] neg_lo:[0,0,1] neg_hi:[0,0,1]
	v_and_b32_e32 v127, 3, v54
	v_pk_fma_f32 v[20:21], v[108:109], 2.0, v[2:3] op_sel_hi:[1,0,1] neg_lo:[0,0,1] neg_hi:[0,0,1]
	ds_write2_b64 v26, v[24:25], v[22:23] offset1:2
	ds_write2_b64 v27, v[20:21], v[2:3] offset1:2
	v_lshlrev_b32_e32 v2, 3, v127
	s_waitcnt lgkmcnt(0)
	; wave barrier
	s_waitcnt lgkmcnt(0)
	global_load_dwordx2 v[2:3], v2, s[4:5] offset:16
	v_lshlrev_b32_e32 v20, 3, v140
	global_load_dwordx2 v[28:29], v20, s[4:5] offset:16
	v_lshlrev_b32_e32 v20, 3, v141
	v_lshlrev_b32_e32 v21, 3, v142
	global_load_dwordx2 v[30:31], v20, s[4:5] offset:16
	global_load_dwordx2 v[32:33], v21, s[4:5] offset:16
	v_lshlrev_b32_e32 v20, 3, v143
	global_load_dwordx2 v[34:35], v20, s[4:5] offset:16
	v_lshlrev_b32_e32 v20, 3, v144
	;; [unrolled: 2-line block ×6, first 2 shown]
	global_load_dwordx2 v[44:45], v20, s[4:5] offset:16
	ds_read2_b64 v[20:23], v5 offset0:106 offset1:169
	ds_read2_b64 v[24:27], v7 offset0:110 offset1:173
	s_movk_i32 s0, 0x78
	s_movk_i32 s1, 0x2f8
	s_waitcnt vmcnt(9) lgkmcnt(1)
	v_pk_mul_f32 v[46:47], v[22:23], v[2:3] op_sel:[0,1]
	s_nop 0
	v_pk_fma_f32 v[74:75], v[22:23], v[2:3], v[46:47] op_sel:[0,0,1] op_sel_hi:[1,1,0]
	v_pk_fma_f32 v[2:3], v[22:23], v[2:3], v[46:47] op_sel:[0,0,1] op_sel_hi:[1,0,0] neg_lo:[0,0,1] neg_hi:[0,0,1]
	s_waitcnt vmcnt(8)
	v_pk_mul_f32 v[22:23], v[20:21], v[28:29] op_sel:[0,1]
	s_waitcnt vmcnt(7) lgkmcnt(0)
	v_pk_mul_f32 v[76:77], v[26:27], v[30:31] op_sel:[0,1]
	v_pk_fma_f32 v[46:47], v[20:21], v[28:29], v[22:23] op_sel:[0,0,1] op_sel_hi:[1,1,0]
	v_pk_fma_f32 v[28:29], v[20:21], v[28:29], v[22:23] op_sel:[0,0,1] op_sel_hi:[1,0,0] neg_lo:[0,0,1] neg_hi:[0,0,1]
	ds_read2_b64 v[20:23], v11 offset0:114 offset1:177
	v_pk_fma_f32 v[78:79], v[26:27], v[30:31], v[76:77] op_sel:[0,0,1] op_sel_hi:[1,1,0]
	v_pk_fma_f32 v[30:31], v[26:27], v[30:31], v[76:77] op_sel:[0,0,1] op_sel_hi:[1,0,0] neg_lo:[0,0,1] neg_hi:[0,0,1]
	s_waitcnt vmcnt(5)
	v_pk_mul_f32 v[26:27], v[24:25], v[34:35] op_sel:[0,1]
	v_mov_b32_e32 v75, v3
	v_pk_fma_f32 v[76:77], v[24:25], v[34:35], v[26:27] op_sel:[0,0,1] op_sel_hi:[1,1,0]
	v_pk_fma_f32 v[34:35], v[24:25], v[34:35], v[26:27] op_sel:[0,0,1] op_sel_hi:[1,0,0] neg_lo:[0,0,1] neg_hi:[0,0,1]
	ds_read2_b64 v[24:27], v10 offset0:116 offset1:179
	s_waitcnt vmcnt(4) lgkmcnt(1)
	v_pk_mul_f32 v[80:81], v[22:23], v[36:37] op_sel:[0,1]
	v_mov_b32_e32 v77, v35
	v_pk_fma_f32 v[82:83], v[22:23], v[36:37], v[80:81] op_sel:[0,0,1] op_sel_hi:[1,1,0]
	v_pk_fma_f32 v[36:37], v[22:23], v[36:37], v[80:81] op_sel:[0,0,1] op_sel_hi:[1,0,0] neg_lo:[0,0,1] neg_hi:[0,0,1]
	s_waitcnt vmcnt(3)
	v_pk_mul_f32 v[22:23], v[38:39], v[20:21] op_sel:[0,1]
	s_waitcnt vmcnt(2) lgkmcnt(0)
	v_pk_mul_f32 v[86:87], v[40:41], v[26:27] op_sel:[0,1]
	v_pk_fma_f32 v[80:81], v[38:39], v[20:21], v[22:23] op_sel:[0,0,1] op_sel_hi:[1,1,0]
	v_pk_fma_f32 v[38:39], v[38:39], v[20:21], v[22:23] op_sel:[0,0,1] op_sel_hi:[1,0,0] neg_lo:[1,0,0] neg_hi:[1,0,0]
	ds_read2_b64 v[20:23], v1 offset0:108 offset1:171
	v_pk_fma_f32 v[88:89], v[40:41], v[26:27], v[86:87] op_sel:[0,0,1] op_sel_hi:[1,1,0]
	v_pk_fma_f32 v[40:41], v[40:41], v[26:27], v[86:87] op_sel:[0,0,1] op_sel_hi:[1,0,0] neg_lo:[1,0,0] neg_hi:[1,0,0]
	s_waitcnt vmcnt(1)
	v_pk_mul_f32 v[26:27], v[42:43], v[24:25] op_sel:[0,1]
	v_and_or_b32 v1, v0, s0, v147
	v_pk_fma_f32 v[86:87], v[42:43], v[24:25], v[26:27] op_sel:[0,0,1] op_sel_hi:[1,1,0]
	v_pk_fma_f32 v[90:91], v[42:43], v[24:25], v[26:27] op_sel:[0,0,1] op_sel_hi:[1,0,0] neg_lo:[1,0,0] neg_hi:[1,0,0]
	ds_read2_b64 v[24:27], v9 offset0:112 offset1:175
	s_waitcnt lgkmcnt(1)
	v_pk_mul_f32 v[102:103], v[22:23], v[32:33] op_sel:[0,1]
	v_mov_b32_e32 v87, v91
	v_pk_fma_f32 v[104:105], v[22:23], v[32:33], v[102:103] op_sel:[0,0,1] op_sel_hi:[1,1,0]
	v_pk_fma_f32 v[22:23], v[22:23], v[32:33], v[102:103] op_sel:[0,0,1] op_sel_hi:[1,0,0] neg_lo:[0,0,1] neg_hi:[0,0,1]
	v_pk_mul_f32 v[32:33], v[20:21], v[42:43] op_sel:[0,1]
	v_lshl_add_u32 v1, v1, 3, 0
	v_pk_fma_f32 v[102:103], v[20:21], v[42:43], v[32:33] op_sel:[0,0,1] op_sel_hi:[1,1,0]
	v_pk_fma_f32 v[20:21], v[20:21], v[42:43], v[32:33] op_sel:[0,0,1] op_sel_hi:[1,0,0] neg_lo:[0,0,1] neg_hi:[0,0,1]
	s_waitcnt vmcnt(0) lgkmcnt(0)
	v_pk_mul_f32 v[32:33], v[26:27], v[44:45] op_sel:[0,1]
	v_mov_b32_e32 v89, v41
	v_pk_fma_f32 v[106:107], v[26:27], v[44:45], v[32:33] op_sel:[0,0,1] op_sel_hi:[1,1,0]
	v_pk_fma_f32 v[26:27], v[26:27], v[44:45], v[32:33] op_sel:[0,0,1] op_sel_hi:[1,0,0] neg_lo:[0,0,1] neg_hi:[0,0,1]
	v_pk_mul_f32 v[32:33], v[24:25], v[42:43] op_sel:[0,1]
	s_movk_i32 s0, 0xf8
	v_pk_fma_f32 v[44:45], v[24:25], v[42:43], v[32:33] op_sel:[0,0,1] op_sel_hi:[1,1,0]
	v_pk_fma_f32 v[24:25], v[24:25], v[42:43], v[32:33] op_sel:[0,0,1] op_sel_hi:[1,0,0] neg_lo:[0,0,1] neg_hi:[0,0,1]
	ds_read_b64 v[32:33], v92
	ds_read_b64 v[42:43], v13
	;; [unrolled: 1-line block ×12, first 2 shown]
	s_waitcnt lgkmcnt(0)
	; wave barrier
	s_waitcnt lgkmcnt(0)
	v_pk_add_f32 v[86:87], v[32:33], v[86:87] neg_lo:[0,1] neg_hi:[0,1]
	v_mov_b32_e32 v81, v39
	v_pk_fma_f32 v[32:33], v[32:33], 2.0, v[86:87] op_sel_hi:[1,0,1] neg_lo:[0,0,1] neg_hi:[0,0,1]
	ds_write2_b64 v1, v[32:33], v[86:87] offset1:4
	v_and_or_b32 v1, v19, s0, v146
	v_pk_add_f32 v[32:33], v[108:109], v[88:89] neg_lo:[0,1] neg_hi:[0,1]
	v_lshl_add_u32 v1, v1, 3, 0
	v_pk_fma_f32 v[40:41], v[108:109], 2.0, v[32:33] op_sel_hi:[1,0,1] neg_lo:[0,0,1] neg_hi:[0,0,1]
	s_movk_i32 s0, 0x1f8
	ds_write2_b64 v1, v[40:41], v[32:33] offset1:4
	v_and_or_b32 v1, v130, s0, v145
	v_pk_add_f32 v[32:33], v[90:91], v[80:81] neg_lo:[0,1] neg_hi:[0,1]
	v_lshl_add_u32 v1, v1, 3, 0
	v_pk_fma_f32 v[38:39], v[90:91], 2.0, v[32:33] op_sel_hi:[1,0,1] neg_lo:[0,0,1] neg_hi:[0,0,1]
	v_mov_b32_e32 v83, v37
	ds_write2_b64 v1, v[38:39], v[32:33] offset1:4
	v_and_or_b32 v1, v134, s0, v144
	v_pk_add_f32 v[32:33], v[42:43], v[82:83] neg_lo:[0,1] neg_hi:[0,1]
	v_lshl_add_u32 v1, v1, 3, 0
	v_pk_fma_f32 v[36:37], v[42:43], 2.0, v[32:33] op_sel_hi:[1,0,1] neg_lo:[0,0,1] neg_hi:[0,0,1]
	v_mov_b32_e32 v45, v25
	s_movk_i32 s0, 0x3f8
	ds_write2_b64 v1, v[36:37], v[32:33] offset1:4
	v_and_or_b32 v1, v126, s0, v147
	v_pk_add_f32 v[24:25], v[124:125], v[44:45] neg_lo:[0,1] neg_hi:[0,1]
	v_lshl_add_u32 v1, v1, 3, 0
	v_pk_fma_f32 v[32:33], v[124:125], 2.0, v[24:25] op_sel_hi:[1,0,1] neg_lo:[0,0,1] neg_hi:[0,0,1]
	v_mov_b32_e32 v107, v27
	ds_write2_b64 v1, v[32:33], v[24:25] offset1:4
	v_and_or_b32 v1, v135, s1, v148
	v_pk_add_f32 v[24:25], v[122:123], v[106:107] neg_lo:[0,1] neg_hi:[0,1]
	v_lshl_add_u32 v1, v1, 3, 0
	v_pk_fma_f32 v[26:27], v[122:123], 2.0, v[24:25] op_sel_hi:[1,0,1] neg_lo:[0,0,1] neg_hi:[0,0,1]
	ds_write2_b64 v1, v[26:27], v[24:25] offset1:4
	v_and_or_b32 v1, v129, s0, v143
	v_pk_add_f32 v[24:25], v[120:121], v[76:77] neg_lo:[0,1] neg_hi:[0,1]
	v_lshl_add_u32 v1, v1, 3, 0
	v_pk_fma_f32 v[26:27], v[120:121], 2.0, v[24:25] op_sel_hi:[1,0,1] neg_lo:[0,0,1] neg_hi:[0,0,1]
	ds_write2_b64 v1, v[26:27], v[24:25] offset1:4
	v_and_or_b32 v1, v136, s0, v141
	s_movk_i32 s0, 0x7f8
	v_and_or_b32 v2, v128, s0, v147
	s_movk_i32 s0, 0x4f8
	;; [unrolled: 2-line block ×3, first 2 shown]
	v_mov_b32_e32 v79, v31
	v_mov_b32_e32 v47, v29
	;; [unrolled: 1-line block ×3, first 2 shown]
	v_and_or_b32 v20, v139, s0, v127
	v_pk_add_f32 v[30:31], v[118:119], v[78:79] neg_lo:[0,1] neg_hi:[0,1]
	v_mov_b32_e32 v103, v21
	v_and_or_b32 v19, v138, s0, v140
	v_lshl_add_u32 v1, v1, 3, 0
	v_lshl_add_u32 v38, v2, 3, 0
	;; [unrolled: 1-line block ×4, first 2 shown]
	v_pk_add_f32 v[2:3], v[110:111], v[74:75] neg_lo:[0,1] neg_hi:[0,1]
	v_pk_add_f32 v[24:25], v[112:113], v[46:47] neg_lo:[0,1] neg_hi:[0,1]
	v_pk_add_f32 v[28:29], v[114:115], v[104:105] neg_lo:[0,1] neg_hi:[0,1]
	v_pk_fma_f32 v[34:35], v[118:119], 2.0, v[30:31] op_sel_hi:[1,0,1] neg_lo:[0,0,1] neg_hi:[0,0,1]
	v_pk_add_f32 v[20:21], v[116:117], v[102:103] neg_lo:[0,1] neg_hi:[0,1]
	v_lshl_add_u32 v19, v19, 3, 0
	v_pk_fma_f32 v[22:23], v[110:111], 2.0, v[2:3] op_sel_hi:[1,0,1] neg_lo:[0,0,1] neg_hi:[0,0,1]
	v_pk_fma_f32 v[26:27], v[112:113], 2.0, v[24:25] op_sel_hi:[1,0,1] neg_lo:[0,0,1] neg_hi:[0,0,1]
	;; [unrolled: 1-line block ×4, first 2 shown]
	ds_write2_b64 v1, v[34:35], v[30:31] offset1:4
	ds_write2_b64 v38, v[36:37], v[20:21] offset1:4
	;; [unrolled: 1-line block ×5, first 2 shown]
	v_and_b32_e32 v1, 7, v62
	v_lshlrev_b32_e32 v2, 4, v1
	s_waitcnt lgkmcnt(0)
	; wave barrier
	s_waitcnt lgkmcnt(0)
	global_load_dwordx4 v[20:23], v2, s[4:5] offset:48
	v_and_b32_e32 v19, 7, v68
	v_lshlrev_b32_e32 v2, 4, v19
	global_load_dwordx4 v[24:27], v2, s[4:5] offset:48
	v_and_b32_e32 v134, 7, v64
	v_lshlrev_b32_e32 v2, 4, v134
	;; [unrolled: 3-line block ×7, first 2 shown]
	global_load_dwordx4 v[74:77], v2, s[4:5] offset:48
	ds_read2_b64 v[78:81], v11 offset0:51 offset1:114
	ds_read2_b64 v[86:89], v5 offset0:43 offset1:106
	s_mov_b32 s0, 0xaaab
	s_movk_i32 s1, 0xab
	s_waitcnt vmcnt(7) lgkmcnt(1)
	v_pk_mul_f32 v[82:83], v[80:81], v[20:21] op_sel:[0,1]
	s_nop 0
	v_pk_fma_f32 v[2:3], v[80:81], v[20:21], v[82:83] op_sel:[0,0,1] op_sel_hi:[1,1,0]
	v_pk_fma_f32 v[80:81], v[80:81], v[20:21], v[82:83] op_sel:[0,0,1] op_sel_hi:[1,0,0] neg_lo:[0,0,1] neg_hi:[0,0,1]
	v_mov_b32_e32 v20, v23
	s_waitcnt lgkmcnt(0)
	v_pk_mul_f32 v[20:21], v[88:89], v[20:21] op_sel_hi:[1,0]
	v_lshrrev_b32_e32 v3, 3, v48
	v_pk_fma_f32 v[82:83], v[88:89], v[22:23], v[20:21] op_sel:[0,0,1] op_sel_hi:[1,1,0]
	v_pk_fma_f32 v[88:89], v[88:89], v[22:23], v[20:21] op_sel:[0,0,1] op_sel_hi:[1,0,0] neg_lo:[0,0,1] neg_hi:[0,0,1]
	s_waitcnt vmcnt(6)
	v_pk_mul_f32 v[20:21], v[78:79], v[24:25] op_sel:[0,1]
	v_mul_u32_u24_e32 v3, 24, v3
	v_pk_fma_f32 v[90:91], v[78:79], v[24:25], v[20:21] op_sel:[0,0,1] op_sel_hi:[1,1,0]
	v_pk_fma_f32 v[78:79], v[78:79], v[24:25], v[20:21] op_sel:[0,0,1] op_sel_hi:[1,0,0] neg_lo:[0,0,1] neg_hi:[0,0,1]
	v_mov_b32_e32 v24, v27
	ds_read2_b64 v[20:23], v6 offset0:181 offset1:244
	v_pk_mul_f32 v[24:25], v[86:87], v[24:25] op_sel_hi:[1,0]
	v_or_b32_e32 v3, v3, v132
	v_pk_fma_f32 v[102:103], v[86:87], v[26:27], v[24:25] op_sel:[0,0,1] op_sel_hi:[1,1,0]
	v_pk_fma_f32 v[86:87], v[86:87], v[26:27], v[24:25] op_sel:[0,0,1] op_sel_hi:[1,0,0] neg_lo:[0,0,1] neg_hi:[0,0,1]
	ds_read2_b64 v[24:27], v7 offset0:173 offset1:236
	s_waitcnt vmcnt(5) lgkmcnt(1)
	v_pk_mul_f32 v[104:105], v[22:23], v[28:29] op_sel:[0,1]
	v_lshl_add_u32 v3, v3, 3, 0
	v_pk_fma_f32 v[106:107], v[22:23], v[28:29], v[104:105] op_sel:[0,0,1] op_sel_hi:[1,1,0]
	v_pk_fma_f32 v[28:29], v[22:23], v[28:29], v[104:105] op_sel:[0,0,1] op_sel_hi:[1,0,0] neg_lo:[0,0,1] neg_hi:[0,0,1]
	v_mov_b32_e32 v22, v31
	s_waitcnt lgkmcnt(0)
	v_pk_mul_f32 v[22:23], v[26:27], v[22:23] op_sel_hi:[1,0]
	v_mov_b32_e32 v107, v29
	v_pk_fma_f32 v[104:105], v[26:27], v[30:31], v[22:23] op_sel:[0,0,1] op_sel_hi:[1,1,0]
	v_pk_fma_f32 v[30:31], v[26:27], v[30:31], v[22:23] op_sel:[0,0,1] op_sel_hi:[1,0,0] neg_lo:[0,0,1] neg_hi:[0,0,1]
	s_waitcnt vmcnt(4)
	v_pk_mul_f32 v[22:23], v[20:21], v[32:33] op_sel:[0,1]
	v_mov_b32_e32 v26, v35
	v_pk_fma_f32 v[108:109], v[20:21], v[32:33], v[22:23] op_sel:[0,0,1] op_sel_hi:[1,1,0]
	v_pk_fma_f32 v[32:33], v[20:21], v[32:33], v[22:23] op_sel:[0,0,1] op_sel_hi:[1,0,0] neg_lo:[0,0,1] neg_hi:[0,0,1]
	ds_read2_b64 v[20:23], v6 offset0:55 offset1:118
	v_pk_mul_f32 v[26:27], v[24:25], v[26:27] op_sel_hi:[1,0]
	v_mov_b32_e32 v109, v33
	v_pk_fma_f32 v[110:111], v[24:25], v[34:35], v[26:27] op_sel:[0,0,1] op_sel_hi:[1,1,0]
	v_pk_fma_f32 v[34:35], v[24:25], v[34:35], v[26:27] op_sel:[0,0,1] op_sel_hi:[1,0,0] neg_lo:[0,0,1] neg_hi:[0,0,1]
	ds_read2_b64 v[24:27], v7 offset0:47 offset1:110
	s_waitcnt vmcnt(3) lgkmcnt(1)
	v_pk_mul_f32 v[112:113], v[22:23], v[36:37] op_sel:[0,1]
	v_mov_b32_e32 v111, v35
	v_pk_fma_f32 v[114:115], v[22:23], v[36:37], v[112:113] op_sel:[0,0,1] op_sel_hi:[1,1,0]
	v_pk_fma_f32 v[36:37], v[22:23], v[36:37], v[112:113] op_sel:[0,0,1] op_sel_hi:[1,0,0] neg_lo:[0,0,1] neg_hi:[0,0,1]
	v_mov_b32_e32 v22, v39
	s_waitcnt lgkmcnt(0)
	v_pk_mul_f32 v[22:23], v[26:27], v[22:23] op_sel_hi:[1,0]
	v_mov_b32_e32 v115, v37
	v_pk_fma_f32 v[112:113], v[26:27], v[38:39], v[22:23] op_sel:[0,0,1] op_sel_hi:[1,1,0]
	v_pk_fma_f32 v[26:27], v[26:27], v[38:39], v[22:23] op_sel:[0,0,1] op_sel_hi:[1,0,0] neg_lo:[0,0,1] neg_hi:[0,0,1]
	s_waitcnt vmcnt(2)
	v_pk_mul_f32 v[22:23], v[40:41], v[20:21] op_sel:[0,1]
	v_mov_b32_e32 v113, v27
	v_pk_fma_f32 v[38:39], v[40:41], v[20:21], v[22:23] op_sel:[0,0,1] op_sel_hi:[1,1,0]
	v_pk_fma_f32 v[40:41], v[40:41], v[20:21], v[22:23] op_sel:[0,0,1] op_sel_hi:[1,0,0] neg_lo:[1,0,0] neg_hi:[1,0,0]
	v_mov_b32_e32 v20, v43
	v_pk_mul_f32 v[20:21], v[24:25], v[20:21] op_sel_hi:[1,0]
	v_mov_b32_e32 v39, v41
	v_pk_fma_f32 v[116:117], v[24:25], v[42:43], v[20:21] op_sel:[0,0,1] op_sel_hi:[1,1,0]
	v_pk_fma_f32 v[24:25], v[24:25], v[42:43], v[20:21] op_sel:[0,0,1] op_sel_hi:[1,0,0] neg_lo:[0,0,1] neg_hi:[0,0,1]
	ds_read_b64 v[42:43], v92 offset:11592
	ds_read2_b64 v[20:23], v11 offset0:177 offset1:240
	ds_read_b64 v[118:119], v96
	ds_read_b64 v[120:121], v12
	;; [unrolled: 1-line block ×3, first 2 shown]
	s_waitcnt vmcnt(1)
	v_mov_b32_e32 v24, v47
	s_waitcnt lgkmcnt(4)
	v_pk_mul_f32 v[124:125], v[42:43], v[24:25] op_sel_hi:[1,0]
	v_mov_b32_e32 v117, v25
	v_pk_fma_f32 v[126:127], v[42:43], v[46:47], v[124:125] op_sel:[0,0,1] op_sel_hi:[1,1,0]
	v_pk_fma_f32 v[42:43], v[42:43], v[46:47], v[124:125] op_sel:[0,0,1] op_sel_hi:[1,0,0] neg_lo:[0,0,1] neg_hi:[0,0,1]
	s_waitcnt lgkmcnt(3)
	v_pk_mul_f32 v[46:47], v[20:21], v[44:45] op_sel:[0,1]
	s_waitcnt lgkmcnt(2)
	v_pk_add_f32 v[24:25], v[118:119], v[38:39]
	v_pk_fma_f32 v[124:125], v[20:21], v[44:45], v[46:47] op_sel:[0,0,1] op_sel_hi:[1,1,0]
	v_pk_fma_f32 v[20:21], v[20:21], v[44:45], v[46:47] op_sel:[0,0,1] op_sel_hi:[1,0,0] neg_lo:[0,0,1] neg_hi:[0,0,1]
	ds_read_b64 v[44:45], v18
	s_waitcnt vmcnt(0)
	v_pk_mul_f32 v[46:47], v[76:77], v[22:23] op_sel:[0,1]
	v_pk_add_f32 v[24:25], v[24:25], v[116:117]
	v_pk_fma_f32 v[128:129], v[76:77], v[22:23], v[46:47] op_sel:[0,0,1] op_sel_hi:[1,1,0]
	v_pk_fma_f32 v[22:23], v[76:77], v[22:23], v[46:47] op_sel:[0,0,1] op_sel_hi:[1,0,0] neg_lo:[1,0,0] neg_hi:[1,0,0]
	ds_read_b64 v[46:47], v17
	s_waitcnt lgkmcnt(1)
	v_pk_mul_f32 v[76:77], v[74:75], v[44:45] op_sel:[0,1]
	v_mov_b32_e32 v129, v23
	v_pk_fma_f32 v[130:131], v[74:75], v[44:45], v[76:77] op_sel:[0,0,1] op_sel_hi:[1,1,0]
	v_pk_fma_f32 v[44:45], v[74:75], v[44:45], v[76:77] op_sel:[0,0,1] op_sel_hi:[1,0,0] neg_lo:[1,0,0] neg_hi:[1,0,0]
	v_pk_add_f32 v[26:27], v[114:115], v[112:113] neg_lo:[0,1] neg_hi:[0,1]
	v_mov_b32_e32 v131, v45
	v_pk_add_f32 v[22:23], v[130:131], v[128:129]
	v_pk_add_f32 v[74:75], v[130:131], v[128:129] neg_lo:[0,1] neg_hi:[0,1]
	v_pk_fma_f32 v[22:23], v[22:23], 0.5, v[122:123] op_sel_hi:[1,0,1] neg_lo:[1,0,0] neg_hi:[1,0,0]
	v_pk_mul_f32 v[74:75], v[74:75], s[2:3] op_sel_hi:[1,0]
	v_pk_add_f32 v[44:45], v[122:123], v[130:131]
	v_pk_add_f32 v[76:77], v[22:23], v[74:75] op_sel:[0,1] op_sel_hi:[1,0] neg_lo:[0,1] neg_hi:[0,1]
	v_pk_add_f32 v[22:23], v[22:23], v[74:75] op_sel:[0,1] op_sel_hi:[1,0]
	v_pk_add_f32 v[44:45], v[44:45], v[128:129]
	v_mov_b32_e32 v132, v76
	v_mov_b32_e32 v133, v23
	;; [unrolled: 1-line block ×3, first 2 shown]
	ds_read_b64 v[74:75], v16
	ds_read_b64 v[122:123], v15
	;; [unrolled: 1-line block ×4, first 2 shown]
	s_waitcnt lgkmcnt(0)
	; wave barrier
	s_waitcnt lgkmcnt(0)
	ds_write2_b64 v3, v[44:45], v[132:133] offset1:8
	ds_write_b64 v3, v[22:23] offset:128
	v_pk_add_f32 v[22:23], v[38:39], v[116:117]
	v_pk_add_f32 v[38:39], v[38:39], v[116:117] neg_lo:[0,1] neg_hi:[0,1]
	v_lshrrev_b32_e32 v3, 3, v50
	v_pk_fma_f32 v[22:23], v[22:23], 0.5, v[118:119] op_sel_hi:[1,0,1] neg_lo:[1,0,0] neg_hi:[1,0,0]
	v_pk_mul_f32 v[38:39], v[38:39], s[2:3] op_sel_hi:[1,0]
	v_mul_lo_u32 v3, v3, 24
	v_pk_add_f32 v[40:41], v[22:23], v[38:39] op_sel:[0,1] op_sel_hi:[1,0] neg_lo:[0,1] neg_hi:[0,1]
	v_pk_add_f32 v[22:23], v[22:23], v[38:39] op_sel:[0,1] op_sel_hi:[1,0]
	v_or_b32_e32 v3, v3, v137
	v_lshl_add_u32 v3, v3, 3, 0
	v_mov_b32_e32 v38, v40
	v_mov_b32_e32 v39, v23
	;; [unrolled: 1-line block ×3, first 2 shown]
	ds_write2_b64 v3, v[24:25], v[38:39] offset1:8
	ds_write_b64 v3, v[22:23] offset:128
	v_pk_add_f32 v[22:23], v[114:115], v[112:113]
	v_lshrrev_b32_e32 v3, 3, v72
	v_pk_fma_f32 v[22:23], v[22:23], 0.5, v[120:121] op_sel_hi:[1,0,1] neg_lo:[1,0,0] neg_hi:[1,0,0]
	v_pk_mul_f32 v[26:27], v[26:27], s[2:3] op_sel_hi:[1,0]
	v_mul_lo_u32 v3, v3, 24
	v_pk_add_f32 v[24:25], v[120:121], v[114:115]
	v_pk_add_f32 v[36:37], v[22:23], v[26:27] op_sel:[0,1] op_sel_hi:[1,0] neg_lo:[0,1] neg_hi:[0,1]
	v_pk_add_f32 v[22:23], v[22:23], v[26:27] op_sel:[0,1] op_sel_hi:[1,0]
	v_or_b32_e32 v3, v3, v136
	v_pk_add_f32 v[24:25], v[24:25], v[112:113]
	v_lshl_add_u32 v3, v3, 3, 0
	v_mov_b32_e32 v26, v36
	v_mov_b32_e32 v27, v23
	;; [unrolled: 1-line block ×3, first 2 shown]
	ds_write2_b64 v3, v[24:25], v[26:27] offset1:8
	ds_write_b64 v3, v[22:23] offset:128
	v_pk_add_f32 v[22:23], v[108:109], v[110:111]
	v_pk_add_f32 v[26:27], v[108:109], v[110:111] neg_lo:[0,1] neg_hi:[0,1]
	v_lshrrev_b32_e32 v3, 3, v70
	v_pk_fma_f32 v[22:23], v[22:23], 0.5, v[130:131] op_sel_hi:[1,0,1] neg_lo:[1,0,0] neg_hi:[1,0,0]
	v_pk_mul_f32 v[26:27], v[26:27], s[2:3] op_sel_hi:[1,0]
	v_mul_lo_u32 v3, v3, 24
	v_pk_add_f32 v[24:25], v[130:131], v[108:109]
	v_pk_add_f32 v[32:33], v[22:23], v[26:27] op_sel:[0,1] op_sel_hi:[1,0] neg_lo:[0,1] neg_hi:[0,1]
	v_pk_add_f32 v[22:23], v[22:23], v[26:27] op_sel:[0,1] op_sel_hi:[1,0]
	v_or_b32_e32 v3, v3, v135
	v_pk_add_f32 v[24:25], v[24:25], v[110:111]
	v_lshl_add_u32 v3, v3, 3, 0
	v_mov_b32_e32 v26, v32
	v_mov_b32_e32 v27, v23
	;; [unrolled: 1-line block ×4, first 2 shown]
	ds_write2_b64 v3, v[24:25], v[26:27] offset1:8
	ds_write_b64 v3, v[22:23] offset:128
	v_pk_add_f32 v[22:23], v[106:107], v[104:105]
	v_pk_add_f32 v[26:27], v[106:107], v[104:105] neg_lo:[0,1] neg_hi:[0,1]
	v_lshrrev_b32_e32 v3, 3, v64
	v_pk_fma_f32 v[22:23], v[22:23], 0.5, v[128:129] op_sel_hi:[1,0,1] neg_lo:[1,0,0] neg_hi:[1,0,0]
	v_pk_mul_f32 v[26:27], v[26:27], s[2:3] op_sel_hi:[1,0]
	v_mul_lo_u32 v3, v3, 24
	v_pk_add_f32 v[24:25], v[128:129], v[106:107]
	v_pk_add_f32 v[28:29], v[22:23], v[26:27] op_sel:[0,1] op_sel_hi:[1,0] neg_lo:[0,1] neg_hi:[0,1]
	v_pk_add_f32 v[22:23], v[22:23], v[26:27] op_sel:[0,1] op_sel_hi:[1,0]
	v_or_b32_e32 v3, v3, v134
	v_pk_add_f32 v[24:25], v[24:25], v[104:105]
	v_lshl_add_u32 v30, v3, 3, 0
	v_mov_b32_e32 v26, v28
	v_mov_b32_e32 v27, v23
	;; [unrolled: 1-line block ×4, first 2 shown]
	ds_write2_b64 v30, v[24:25], v[26:27] offset1:8
	v_lshrrev_b32_e32 v20, 3, v68
	v_mov_b32_e32 v23, v29
	v_pk_add_f32 v[26:27], v[90:91], v[102:103]
	v_pk_add_f32 v[28:29], v[90:91], v[102:103] neg_lo:[0,1] neg_hi:[0,1]
	v_mul_lo_u32 v20, v20, 24
	v_pk_fma_f32 v[26:27], v[26:27], 0.5, v[122:123] op_sel_hi:[1,0,1] neg_lo:[1,0,0] neg_hi:[1,0,0]
	v_pk_mul_f32 v[28:29], v[28:29], s[2:3] op_sel_hi:[1,0]
	v_or_b32_e32 v19, v20, v19
	ds_write_b64 v30, v[22:23] offset:128
	v_pk_add_f32 v[22:23], v[122:123], v[90:91]
	v_pk_add_f32 v[30:31], v[26:27], v[28:29] op_sel:[0,1] op_sel_hi:[1,0] neg_lo:[0,1] neg_hi:[0,1]
	v_pk_add_f32 v[26:27], v[26:27], v[28:29] op_sel:[0,1] op_sel_hi:[1,0]
	v_mov_b32_e32 v3, v81
	v_mov_b32_e32 v83, v89
	v_lshl_add_u32 v19, v19, 3, 0
	v_pk_add_f32 v[22:23], v[22:23], v[102:103]
	v_mov_b32_e32 v28, v30
	v_mov_b32_e32 v29, v27
	v_lshrrev_b32_e32 v20, 3, v62
	v_pk_add_f32 v[24:25], v[74:75], v[2:3]
	ds_write2_b64 v19, v[22:23], v[28:29] offset1:8
	v_pk_add_f32 v[22:23], v[2:3], v[82:83]
	v_pk_add_f32 v[2:3], v[2:3], v[82:83] neg_lo:[0,1] neg_hi:[0,1]
	v_mul_lo_u32 v20, v20, 24
	v_mov_b32_e32 v27, v31
	v_pk_fma_f32 v[22:23], v[22:23], 0.5, v[74:75] op_sel_hi:[1,0,1] neg_lo:[1,0,0] neg_hi:[1,0,0]
	v_pk_mul_f32 v[2:3], v[2:3], s[2:3] op_sel_hi:[1,0]
	v_or_b32_e32 v1, v20, v1
	ds_write_b64 v19, v[26:27] offset:128
	v_pk_add_f32 v[26:27], v[22:23], v[2:3] op_sel:[0,1] op_sel_hi:[1,0] neg_lo:[0,1] neg_hi:[0,1]
	v_pk_add_f32 v[2:3], v[22:23], v[2:3] op_sel:[0,1] op_sel_hi:[1,0]
	v_lshl_add_u32 v1, v1, 3, 0
	v_pk_add_f32 v[24:25], v[24:25], v[82:83]
	v_mov_b32_e32 v22, v26
	v_mov_b32_e32 v23, v3
	;; [unrolled: 1-line block ×5, first 2 shown]
	v_lshrrev_b32_e32 v20, 3, v66
	ds_write2_b64 v1, v[24:25], v[22:23] offset1:8
	ds_write_b64 v1, v[2:3] offset:128
	v_mul_u32_u24_sdwa v1, v62, s0 dst_sel:DWORD dst_unused:UNUSED_PAD src0_sel:WORD_0 src1_sel:DWORD
	v_mul_lo_u32 v20, v20, 24
	v_pk_add_f32 v[2:3], v[124:125], v[126:127]
	v_pk_add_f32 v[22:23], v[124:125], v[126:127] neg_lo:[0,1] neg_hi:[0,1]
	v_lshrrev_b32_e32 v19, 20, v1
	v_or_b32_e32 v20, v20, v138
	v_pk_fma_f32 v[2:3], v[2:3], 0.5, v[46:47] op_sel_hi:[1,0,1] neg_lo:[1,0,0] neg_hi:[1,0,0]
	v_pk_mul_f32 v[22:23], v[22:23], s[2:3] op_sel_hi:[1,0]
	v_mul_lo_u16_e32 v1, 24, v19
	v_lshl_add_u32 v32, v20, 3, 0
	v_pk_add_f32 v[20:21], v[46:47], v[124:125]
	v_pk_add_f32 v[24:25], v[2:3], v[22:23] op_sel:[0,1] op_sel_hi:[1,0] neg_lo:[0,1] neg_hi:[0,1]
	v_pk_add_f32 v[2:3], v[2:3], v[22:23] op_sel:[0,1] op_sel_hi:[1,0]
	v_sub_u16_e32 v134, v62, v1
	v_pk_add_f32 v[20:21], v[20:21], v[126:127]
	v_mov_b32_e32 v22, v24
	v_mov_b32_e32 v23, v3
	;; [unrolled: 1-line block ×3, first 2 shown]
	v_lshlrev_b32_e32 v1, 4, v134
	ds_write2_b64 v32, v[20:21], v[22:23] offset1:8
	ds_write_b64 v32, v[2:3] offset:128
	s_waitcnt lgkmcnt(0)
	; wave barrier
	s_waitcnt lgkmcnt(0)
	global_load_dwordx4 v[20:23], v1, s[4:5] offset:176
	v_mul_u32_u24_sdwa v1, v65, s0 dst_sel:DWORD dst_unused:UNUSED_PAD src0_sel:WORD_0 src1_sel:DWORD
	v_lshrrev_b32_e32 v135, 20, v1
	v_mul_lo_u16_e32 v1, 24, v135
	v_sub_u16_e32 v136, v65, v1
	v_lshlrev_b32_e32 v1, 4, v136
	global_load_dwordx4 v[24:27], v1, s[4:5] offset:176
	v_mul_u32_u24_sdwa v1, v64, s0 dst_sel:DWORD dst_unused:UNUSED_PAD src0_sel:WORD_0 src1_sel:DWORD
	v_lshrrev_b32_e32 v137, 20, v1
	v_mul_lo_u16_e32 v1, 24, v137
	v_sub_u16_e32 v138, v64, v1
	v_lshlrev_b32_e32 v1, 4, v138
	global_load_dwordx4 v[28:31], v1, s[4:5] offset:176
	v_mul_lo_u16_sdwa v1, v70, s1 dst_sel:DWORD dst_unused:UNUSED_PAD src0_sel:BYTE_0 src1_sel:DWORD
	v_lshrrev_b16_e32 v139, 12, v1
	v_mul_lo_u16_e32 v1, 24, v139
	v_sub_u16_e32 v140, v70, v1
	v_mov_b32_e32 v1, 4
	v_lshlrev_b32_sdwa v2, v1, v140 dst_sel:DWORD dst_unused:UNUSED_PAD src0_sel:DWORD src1_sel:BYTE_0
	global_load_dwordx4 v[32:35], v2, s[4:5] offset:176
	v_mul_lo_u16_sdwa v2, v72, s1 dst_sel:DWORD dst_unused:UNUSED_PAD src0_sel:BYTE_0 src1_sel:DWORD
	v_lshrrev_b16_e32 v141, 12, v2
	v_mul_lo_u16_e32 v2, 24, v141
	v_sub_u16_e32 v142, v72, v2
	v_lshlrev_b32_sdwa v2, v1, v142 dst_sel:DWORD dst_unused:UNUSED_PAD src0_sel:DWORD src1_sel:BYTE_0
	global_load_dwordx4 v[36:39], v2, s[4:5] offset:176
	v_mul_lo_u16_sdwa v2, v50, s1 dst_sel:DWORD dst_unused:UNUSED_PAD src0_sel:BYTE_0 src1_sel:DWORD
	v_lshrrev_b16_e32 v143, 12, v2
	v_mul_lo_u16_e32 v2, 24, v143
	v_sub_u16_e32 v144, v50, v2
	v_lshlrev_b32_sdwa v2, v1, v144 dst_sel:DWORD dst_unused:UNUSED_PAD src0_sel:DWORD src1_sel:BYTE_0
	global_load_dwordx4 v[40:43], v2, s[4:5] offset:176
	v_mul_u32_u24_sdwa v2, v63, s0 dst_sel:DWORD dst_unused:UNUSED_PAD src0_sel:WORD_0 src1_sel:DWORD
	v_lshrrev_b32_e32 v145, 20, v2
	v_mul_lo_u16_e32 v2, 24, v145
	v_sub_u16_e32 v146, v63, v2
	v_lshlrev_b32_e32 v2, 4, v146
	global_load_dwordx4 v[44:47], v2, s[4:5] offset:176
	v_mul_lo_u16_sdwa v2, v48, s1 dst_sel:DWORD dst_unused:UNUSED_PAD src0_sel:BYTE_0 src1_sel:DWORD
	v_lshrrev_b16_e32 v132, 12, v2
	v_mul_lo_u16_e32 v2, 24, v132
	v_sub_u16_e32 v133, v48, v2
	v_lshlrev_b32_sdwa v2, v1, v133 dst_sel:DWORD dst_unused:UNUSED_PAD src0_sel:DWORD src1_sel:BYTE_0
	global_load_dwordx4 v[74:77], v2, s[4:5] offset:176
	ds_read2_b64 v[78:81], v11 offset0:51 offset1:114
	ds_read2_b64 v[86:89], v5 offset0:43 offset1:106
	s_mov_b32 s0, 0x5040100
	s_movk_i32 s1, 0x240
	v_perm_b32 v19, v145, v19, s0
	v_pk_mul_lo_u16 v19, v19, s1 op_sel_hi:[1,0]
	s_waitcnt vmcnt(7) lgkmcnt(1)
	v_pk_mul_f32 v[2:3], v[80:81], v[20:21] op_sel:[0,1]
	s_nop 0
	v_pk_fma_f32 v[82:83], v[80:81], v[20:21], v[2:3] op_sel:[0,0,1] op_sel_hi:[1,1,0]
	v_pk_fma_f32 v[2:3], v[80:81], v[20:21], v[2:3] op_sel:[0,0,1] op_sel_hi:[1,0,0] neg_lo:[0,0,1] neg_hi:[0,0,1]
	s_nop 0
	v_mov_b32_e32 v2, v23
	s_waitcnt lgkmcnt(0)
	v_pk_mul_f32 v[20:21], v[88:89], v[2:3] op_sel_hi:[1,0]
	s_waitcnt vmcnt(6)
	v_mov_b32_e32 v2, v27
	v_pk_fma_f32 v[80:81], v[88:89], v[22:23], v[20:21] op_sel:[0,0,1] op_sel_hi:[1,1,0]
	v_pk_fma_f32 v[88:89], v[88:89], v[22:23], v[20:21] op_sel:[0,0,1] op_sel_hi:[1,0,0] neg_lo:[0,0,1] neg_hi:[0,0,1]
	v_pk_mul_f32 v[20:21], v[78:79], v[24:25] op_sel:[0,1]
	v_mov_b32_e32 v83, v3
	v_pk_fma_f32 v[90:91], v[78:79], v[24:25], v[20:21] op_sel:[0,0,1] op_sel_hi:[1,1,0]
	v_pk_fma_f32 v[78:79], v[78:79], v[24:25], v[20:21] op_sel:[0,0,1] op_sel_hi:[1,0,0] neg_lo:[0,0,1] neg_hi:[0,0,1]
	ds_read2_b64 v[20:23], v6 offset0:181 offset1:244
	v_pk_mul_f32 v[24:25], v[86:87], v[2:3] op_sel_hi:[1,0]
	s_waitcnt vmcnt(5)
	v_mov_b32_e32 v2, v31
	v_pk_fma_f32 v[102:103], v[86:87], v[26:27], v[24:25] op_sel:[0,0,1] op_sel_hi:[1,1,0]
	v_pk_fma_f32 v[86:87], v[86:87], v[26:27], v[24:25] op_sel:[0,0,1] op_sel_hi:[1,0,0] neg_lo:[0,0,1] neg_hi:[0,0,1]
	ds_read2_b64 v[24:27], v7 offset0:173 offset1:236
	s_waitcnt lgkmcnt(1)
	v_pk_mul_f32 v[104:105], v[22:23], v[28:29] op_sel:[0,1]
	v_mov_b32_e32 v91, v79
	v_pk_fma_f32 v[106:107], v[22:23], v[28:29], v[104:105] op_sel:[0,0,1] op_sel_hi:[1,1,0]
	v_pk_fma_f32 v[28:29], v[22:23], v[28:29], v[104:105] op_sel:[0,0,1] op_sel_hi:[1,0,0] neg_lo:[0,0,1] neg_hi:[0,0,1]
	s_waitcnt lgkmcnt(0)
	v_pk_mul_f32 v[22:23], v[26:27], v[2:3] op_sel_hi:[1,0]
	s_waitcnt vmcnt(4)
	v_mov_b32_e32 v2, v35
	v_pk_fma_f32 v[104:105], v[26:27], v[30:31], v[22:23] op_sel:[0,0,1] op_sel_hi:[1,1,0]
	v_pk_fma_f32 v[30:31], v[26:27], v[30:31], v[22:23] op_sel:[0,0,1] op_sel_hi:[1,0,0] neg_lo:[0,0,1] neg_hi:[0,0,1]
	v_pk_mul_f32 v[22:23], v[20:21], v[32:33] op_sel:[0,1]
	v_pk_mul_f32 v[26:27], v[24:25], v[2:3] op_sel_hi:[1,0]
	v_pk_fma_f32 v[108:109], v[20:21], v[32:33], v[22:23] op_sel:[0,0,1] op_sel_hi:[1,1,0]
	v_pk_fma_f32 v[32:33], v[20:21], v[32:33], v[22:23] op_sel:[0,0,1] op_sel_hi:[1,0,0] neg_lo:[0,0,1] neg_hi:[0,0,1]
	ds_read2_b64 v[20:23], v6 offset0:55 offset1:118
	v_pk_fma_f32 v[110:111], v[24:25], v[34:35], v[26:27] op_sel:[0,0,1] op_sel_hi:[1,1,0]
	v_pk_fma_f32 v[34:35], v[24:25], v[34:35], v[26:27] op_sel:[0,0,1] op_sel_hi:[1,0,0] neg_lo:[0,0,1] neg_hi:[0,0,1]
	ds_read2_b64 v[24:27], v7 offset0:47 offset1:110
	s_waitcnt vmcnt(3)
	v_mov_b32_e32 v2, v39
	s_waitcnt lgkmcnt(1)
	v_pk_mul_f32 v[112:113], v[22:23], v[36:37] op_sel:[0,1]
	v_mov_b32_e32 v109, v33
	v_pk_fma_f32 v[114:115], v[22:23], v[36:37], v[112:113] op_sel:[0,0,1] op_sel_hi:[1,1,0]
	v_pk_fma_f32 v[36:37], v[22:23], v[36:37], v[112:113] op_sel:[0,0,1] op_sel_hi:[1,0,0] neg_lo:[0,0,1] neg_hi:[0,0,1]
	s_waitcnt lgkmcnt(0)
	v_pk_mul_f32 v[22:23], v[26:27], v[2:3] op_sel_hi:[1,0]
	s_waitcnt vmcnt(2)
	v_mov_b32_e32 v2, v43
	v_pk_fma_f32 v[112:113], v[26:27], v[38:39], v[22:23] op_sel:[0,0,1] op_sel_hi:[1,1,0]
	v_pk_fma_f32 v[26:27], v[26:27], v[38:39], v[22:23] op_sel:[0,0,1] op_sel_hi:[1,0,0] neg_lo:[0,0,1] neg_hi:[0,0,1]
	v_pk_mul_f32 v[22:23], v[40:41], v[20:21] op_sel:[0,1]
	v_mov_b32_e32 v115, v37
	v_pk_fma_f32 v[38:39], v[40:41], v[20:21], v[22:23] op_sel:[0,0,1] op_sel_hi:[1,1,0]
	v_pk_fma_f32 v[40:41], v[40:41], v[20:21], v[22:23] op_sel:[0,0,1] op_sel_hi:[1,0,0] neg_lo:[1,0,0] neg_hi:[1,0,0]
	v_pk_mul_f32 v[20:21], v[24:25], v[2:3] op_sel_hi:[1,0]
	s_waitcnt vmcnt(1)
	v_mov_b32_e32 v2, v47
	v_pk_fma_f32 v[116:117], v[24:25], v[42:43], v[20:21] op_sel:[0,0,1] op_sel_hi:[1,1,0]
	v_pk_fma_f32 v[24:25], v[24:25], v[42:43], v[20:21] op_sel:[0,0,1] op_sel_hi:[1,0,0] neg_lo:[0,0,1] neg_hi:[0,0,1]
	ds_read_b64 v[42:43], v92 offset:11592
	ds_read2_b64 v[20:23], v11 offset0:177 offset1:240
	ds_read_b64 v[118:119], v96
	ds_read_b64 v[120:121], v12
	;; [unrolled: 1-line block ×3, first 2 shown]
	s_waitcnt lgkmcnt(4)
	v_pk_mul_f32 v[124:125], v[42:43], v[2:3] op_sel_hi:[1,0]
	v_mov_b32_e32 v2, 3
	v_pk_fma_f32 v[126:127], v[42:43], v[46:47], v[124:125] op_sel:[0,0,1] op_sel_hi:[1,1,0]
	v_pk_fma_f32 v[42:43], v[42:43], v[46:47], v[124:125] op_sel:[0,0,1] op_sel_hi:[1,0,0] neg_lo:[0,0,1] neg_hi:[0,0,1]
	s_waitcnt lgkmcnt(3)
	v_pk_mul_f32 v[46:47], v[20:21], v[44:45] op_sel:[0,1]
	v_lshlrev_b32_sdwa v24, v2, v133 dst_sel:DWORD dst_unused:UNUSED_PAD src0_sel:DWORD src1_sel:BYTE_0
	v_pk_fma_f32 v[124:125], v[20:21], v[44:45], v[46:47] op_sel:[0,0,1] op_sel_hi:[1,1,0]
	v_pk_fma_f32 v[20:21], v[20:21], v[44:45], v[46:47] op_sel:[0,0,1] op_sel_hi:[1,0,0] neg_lo:[0,0,1] neg_hi:[0,0,1]
	ds_read_b64 v[44:45], v18
	s_waitcnt vmcnt(0)
	v_pk_mul_f32 v[46:47], v[76:77], v[22:23] op_sel:[0,1]
	v_mul_u32_u24_e32 v20, 0x240, v132
	v_pk_fma_f32 v[128:129], v[76:77], v[22:23], v[46:47] op_sel:[0,0,1] op_sel_hi:[1,1,0]
	v_pk_fma_f32 v[22:23], v[76:77], v[22:23], v[46:47] op_sel:[0,0,1] op_sel_hi:[1,0,0] neg_lo:[1,0,0] neg_hi:[1,0,0]
	ds_read_b64 v[46:47], v17
	s_waitcnt lgkmcnt(1)
	v_pk_mul_f32 v[76:77], v[74:75], v[44:45] op_sel:[0,1]
	v_mov_b32_e32 v129, v23
	v_pk_fma_f32 v[130:131], v[74:75], v[44:45], v[76:77] op_sel:[0,0,1] op_sel_hi:[1,1,0]
	v_pk_fma_f32 v[44:45], v[74:75], v[44:45], v[76:77] op_sel:[0,0,1] op_sel_hi:[1,0,0] neg_lo:[1,0,0] neg_hi:[1,0,0]
	v_add3_u32 v20, 0, v20, v24
	v_mov_b32_e32 v131, v45
	v_pk_add_f32 v[22:23], v[130:131], v[128:129]
	v_pk_add_f32 v[74:75], v[130:131], v[128:129] neg_lo:[0,1] neg_hi:[0,1]
	v_pk_fma_f32 v[22:23], v[22:23], 0.5, v[122:123] op_sel_hi:[1,0,1] neg_lo:[1,0,0] neg_hi:[1,0,0]
	v_pk_mul_f32 v[74:75], v[74:75], s[2:3] op_sel_hi:[1,0]
	v_pk_add_f32 v[44:45], v[122:123], v[130:131]
	v_pk_add_f32 v[76:77], v[22:23], v[74:75] op_sel:[0,1] op_sel_hi:[1,0] neg_lo:[0,1] neg_hi:[0,1]
	v_pk_add_f32 v[22:23], v[22:23], v[74:75] op_sel:[0,1] op_sel_hi:[1,0]
	v_mov_b32_e32 v39, v41
	v_mov_b32_e32 v133, v23
	;; [unrolled: 1-line block ×4, first 2 shown]
	v_pk_add_f32 v[44:45], v[44:45], v[128:129]
	ds_read_b64 v[74:75], v16
	ds_read_b64 v[122:123], v15
	;; [unrolled: 1-line block ×4, first 2 shown]
	s_waitcnt lgkmcnt(0)
	; wave barrier
	s_waitcnt lgkmcnt(0)
	ds_write_b64 v20, v[22:23] offset:384
	v_pk_add_f32 v[22:23], v[38:39], v[116:117]
	v_pk_add_f32 v[24:25], v[118:119], v[38:39]
	v_pk_add_f32 v[38:39], v[38:39], v[116:117] neg_lo:[0,1] neg_hi:[0,1]
	v_mov_b32_e32 v132, v76
	v_pk_fma_f32 v[22:23], v[22:23], 0.5, v[118:119] op_sel_hi:[1,0,1] neg_lo:[1,0,0] neg_hi:[1,0,0]
	v_pk_mul_f32 v[38:39], v[38:39], s[2:3] op_sel_hi:[1,0]
	ds_write2_b64 v20, v[44:45], v[132:133] offset1:24
	v_pk_add_f32 v[40:41], v[22:23], v[38:39] op_sel:[0,1] op_sel_hi:[1,0] neg_lo:[0,1] neg_hi:[0,1]
	v_pk_add_f32 v[22:23], v[22:23], v[38:39] op_sel:[0,1] op_sel_hi:[1,0]
	v_mul_u32_u24_e32 v20, 0x240, v143
	v_lshlrev_b32_sdwa v26, v2, v144 dst_sel:DWORD dst_unused:UNUSED_PAD src0_sel:DWORD src1_sel:BYTE_0
	v_add3_u32 v20, 0, v20, v26
	v_mov_b32_e32 v39, v23
	v_mov_b32_e32 v23, v41
	;; [unrolled: 1-line block ×3, first 2 shown]
	ds_write_b64 v20, v[22:23] offset:384
	v_pk_add_f32 v[22:23], v[114:115], v[112:113]
	v_pk_add_f32 v[26:27], v[114:115], v[112:113] neg_lo:[0,1] neg_hi:[0,1]
	v_pk_add_f32 v[24:25], v[24:25], v[116:117]
	v_mov_b32_e32 v38, v40
	v_pk_fma_f32 v[22:23], v[22:23], 0.5, v[120:121] op_sel_hi:[1,0,1] neg_lo:[1,0,0] neg_hi:[1,0,0]
	v_pk_mul_f32 v[26:27], v[26:27], s[2:3] op_sel_hi:[1,0]
	ds_write2_b64 v20, v[24:25], v[38:39] offset1:24
	v_pk_add_f32 v[24:25], v[120:121], v[114:115]
	v_pk_add_f32 v[36:37], v[22:23], v[26:27] op_sel:[0,1] op_sel_hi:[1,0] neg_lo:[0,1] neg_hi:[0,1]
	v_pk_add_f32 v[22:23], v[22:23], v[26:27] op_sel:[0,1] op_sel_hi:[1,0]
	v_mul_u32_u24_e32 v20, 0x240, v141
	v_lshlrev_b32_sdwa v26, v2, v142 dst_sel:DWORD dst_unused:UNUSED_PAD src0_sel:DWORD src1_sel:BYTE_0
	v_pk_add_f32 v[24:25], v[24:25], v[112:113]
	v_add3_u32 v20, 0, v20, v26
	v_mov_b32_e32 v26, v36
	v_mov_b32_e32 v27, v23
	;; [unrolled: 1-line block ×4, first 2 shown]
	ds_write2_b64 v20, v[24:25], v[26:27] offset1:24
	ds_write_b64 v20, v[22:23] offset:384
	v_pk_add_f32 v[22:23], v[108:109], v[110:111]
	v_pk_add_f32 v[26:27], v[108:109], v[110:111] neg_lo:[0,1] neg_hi:[0,1]
	v_pk_fma_f32 v[22:23], v[22:23], 0.5, v[130:131] op_sel_hi:[1,0,1] neg_lo:[1,0,0] neg_hi:[1,0,0]
	v_pk_mul_f32 v[26:27], v[26:27], s[2:3] op_sel_hi:[1,0]
	v_pk_add_f32 v[24:25], v[130:131], v[108:109]
	v_pk_add_f32 v[32:33], v[22:23], v[26:27] op_sel:[0,1] op_sel_hi:[1,0] neg_lo:[0,1] neg_hi:[0,1]
	v_pk_add_f32 v[22:23], v[22:23], v[26:27] op_sel:[0,1] op_sel_hi:[1,0]
	v_mul_u32_u24_e32 v20, 0x240, v139
	v_lshlrev_b32_sdwa v26, v2, v140 dst_sel:DWORD dst_unused:UNUSED_PAD src0_sel:DWORD src1_sel:BYTE_0
	v_pk_add_f32 v[24:25], v[24:25], v[110:111]
	v_add3_u32 v20, 0, v20, v26
	v_mov_b32_e32 v26, v32
	v_mov_b32_e32 v27, v23
	;; [unrolled: 1-line block ×5, first 2 shown]
	ds_write2_b64 v20, v[24:25], v[26:27] offset1:24
	ds_write_b64 v20, v[22:23] offset:384
	v_pk_add_f32 v[22:23], v[106:107], v[104:105]
	v_pk_add_f32 v[26:27], v[106:107], v[104:105] neg_lo:[0,1] neg_hi:[0,1]
	v_perm_b32 v20, v135, v137, s0
	v_pk_fma_f32 v[22:23], v[22:23], 0.5, v[128:129] op_sel_hi:[1,0,1] neg_lo:[1,0,0] neg_hi:[1,0,0]
	v_pk_mul_f32 v[26:27], v[26:27], s[2:3] op_sel_hi:[1,0]
	v_pk_mul_lo_u16 v20, v20, s1 op_sel_hi:[1,0]
	v_pk_add_f32 v[24:25], v[128:129], v[106:107]
	v_pk_add_f32 v[28:29], v[22:23], v[26:27] op_sel:[0,1] op_sel_hi:[1,0] neg_lo:[0,1] neg_hi:[0,1]
	v_pk_add_f32 v[22:23], v[22:23], v[26:27] op_sel:[0,1] op_sel_hi:[1,0]
	v_lshlrev_b32_e32 v26, 3, v138
	v_and_b32_e32 v27, 0xffc0, v20
	v_pk_add_f32 v[24:25], v[24:25], v[104:105]
	v_add3_u32 v30, 0, v27, v26
	v_mov_b32_e32 v26, v28
	v_mov_b32_e32 v27, v23
	v_mov_b32_e32 v103, v87
	ds_write2_b64 v30, v[24:25], v[26:27] offset1:24
	v_mov_b32_e32 v23, v29
	v_pk_add_f32 v[24:25], v[90:91], v[102:103]
	v_pk_add_f32 v[28:29], v[90:91], v[102:103] neg_lo:[0,1] neg_hi:[0,1]
	v_pk_fma_f32 v[24:25], v[24:25], 0.5, v[122:123] op_sel_hi:[1,0,1] neg_lo:[1,0,0] neg_hi:[1,0,0]
	v_pk_mul_f32 v[28:29], v[28:29], s[2:3] op_sel_hi:[1,0]
	ds_write_b64 v30, v[22:23] offset:384
	v_lshrrev_b32_e32 v3, 16, v20
	v_lshlrev_b32_e32 v20, 3, v136
	v_pk_add_f32 v[26:27], v[122:123], v[90:91]
	v_pk_add_f32 v[30:31], v[24:25], v[28:29] op_sel:[0,1] op_sel_hi:[1,0] neg_lo:[0,1] neg_hi:[0,1]
	v_pk_add_f32 v[24:25], v[24:25], v[28:29] op_sel:[0,1] op_sel_hi:[1,0]
	v_add3_u32 v3, 0, v3, v20
	v_mov_b32_e32 v81, v89
	v_pk_add_f32 v[26:27], v[26:27], v[102:103]
	v_mov_b32_e32 v28, v30
	v_mov_b32_e32 v29, v25
	;; [unrolled: 1-line block ×3, first 2 shown]
	ds_write2_b64 v3, v[26:27], v[28:29] offset1:24
	ds_write_b64 v3, v[24:25] offset:384
	v_pk_add_f32 v[24:25], v[82:83], v[80:81]
	v_pk_add_f32 v[26:27], v[82:83], v[80:81] neg_lo:[0,1] neg_hi:[0,1]
	v_pk_fma_f32 v[24:25], v[24:25], 0.5, v[74:75] op_sel_hi:[1,0,1] neg_lo:[1,0,0] neg_hi:[1,0,0]
	v_pk_mul_f32 v[26:27], v[26:27], s[2:3] op_sel_hi:[1,0]
	v_mov_b32_e32 v125, v21
	v_lshlrev_b32_e32 v20, 3, v134
	v_and_b32_e32 v21, 0xffc0, v19
	v_pk_add_f32 v[28:29], v[24:25], v[26:27] op_sel:[0,1] op_sel_hi:[1,0] neg_lo:[0,1] neg_hi:[0,1]
	v_pk_add_f32 v[24:25], v[24:25], v[26:27] op_sel:[0,1] op_sel_hi:[1,0]
	v_mov_b32_e32 v127, v43
	v_add3_u32 v32, 0, v21, v20
	v_mov_b32_e32 v27, v25
	v_mov_b32_e32 v25, v29
	ds_write_b64 v32, v[24:25] offset:384
	v_pk_add_f32 v[24:25], v[124:125], v[126:127] neg_lo:[0,1] neg_hi:[0,1]
	v_pk_add_f32 v[22:23], v[74:75], v[82:83]
	v_pk_mul_f32 v[24:25], v[24:25], s[2:3] op_sel_hi:[1,0]
	s_mov_b32 s3, 0xe38f
	v_pk_add_f32 v[22:23], v[22:23], v[80:81]
	v_mov_b32_e32 v26, v28
	v_mul_u32_u24_sdwa v3, v62, s3 dst_sel:DWORD dst_unused:UNUSED_PAD src0_sel:WORD_0 src1_sel:DWORD
	ds_write2_b64 v32, v[22:23], v[26:27] offset1:24
	v_pk_add_f32 v[22:23], v[124:125], v[126:127]
	v_lshrrev_b32_e32 v130, 22, v3
	v_lshrrev_b32_e32 v19, 16, v19
	v_lshlrev_b32_e32 v20, 3, v146
	v_pk_fma_f32 v[22:23], v[22:23], 0.5, v[46:47] op_sel_hi:[1,0,1] neg_lo:[1,0,0] neg_hi:[1,0,0]
	v_mul_lo_u16_e32 v3, 0x48, v130
	v_add3_u32 v19, 0, v19, v20
	v_pk_add_f32 v[20:21], v[46:47], v[124:125]
	v_pk_add_f32 v[26:27], v[22:23], v[24:25] op_sel:[0,1] op_sel_hi:[1,0] neg_lo:[0,1] neg_hi:[0,1]
	v_pk_add_f32 v[22:23], v[22:23], v[24:25] op_sel:[0,1] op_sel_hi:[1,0]
	v_sub_u16_e32 v131, v62, v3
	v_pk_add_f32 v[20:21], v[20:21], v[126:127]
	v_mov_b32_e32 v24, v26
	v_mov_b32_e32 v25, v23
	;; [unrolled: 1-line block ×3, first 2 shown]
	v_lshlrev_b32_e32 v3, 4, v131
	ds_write2_b64 v19, v[20:21], v[24:25] offset1:24
	ds_write_b64 v19, v[22:23] offset:384
	s_waitcnt lgkmcnt(0)
	; wave barrier
	s_waitcnt lgkmcnt(0)
	global_load_dwordx4 v[20:23], v3, s[4:5] offset:560
	v_mul_u32_u24_sdwa v3, v65, s3 dst_sel:DWORD dst_unused:UNUSED_PAD src0_sel:WORD_0 src1_sel:DWORD
	v_lshrrev_b32_e32 v132, 22, v3
	v_mul_lo_u16_e32 v3, 0x48, v132
	v_sub_u16_e32 v65, v65, v3
	v_lshlrev_b32_e32 v3, 4, v65
	global_load_dwordx4 v[24:27], v3, s[4:5] offset:560
	v_mul_u32_u24_sdwa v3, v64, s3 dst_sel:DWORD dst_unused:UNUSED_PAD src0_sel:WORD_0 src1_sel:DWORD
	v_lshrrev_b32_e32 v133, 22, v3
	v_mul_lo_u16_e32 v3, 0x48, v133
	v_sub_u16_e32 v134, v64, v3
	v_lshlrev_b32_e32 v3, 4, v134
	global_load_dwordx4 v[28:31], v3, s[4:5] offset:560
	v_mov_b32_e32 v3, 57
	v_mul_lo_u16_sdwa v19, v70, v3 dst_sel:DWORD dst_unused:UNUSED_PAD src0_sel:BYTE_0 src1_sel:DWORD
	v_lshrrev_b16_e32 v135, 12, v19
	v_mul_lo_u16_e32 v19, 0x48, v135
	v_sub_u16_e32 v136, v70, v19
	v_lshlrev_b32_sdwa v19, v1, v136 dst_sel:DWORD dst_unused:UNUSED_PAD src0_sel:DWORD src1_sel:BYTE_0
	v_mul_lo_u16_sdwa v3, v72, v3 dst_sel:DWORD dst_unused:UNUSED_PAD src0_sel:BYTE_0 src1_sel:DWORD
	global_load_dwordx4 v[32:35], v19, s[4:5] offset:560
	v_lshrrev_b16_e32 v3, 12, v3
	v_mul_lo_u16_e32 v19, 0x48, v3
	v_sub_u16_e32 v137, v72, v19
	v_lshlrev_b32_sdwa v1, v1, v137 dst_sel:DWORD dst_unused:UNUSED_PAD src0_sel:DWORD src1_sel:BYTE_0
	v_add_u32_e32 v19, -9, v48
	v_cmp_gt_u32_e64 s[0:1], 9, v48
	global_load_dwordx4 v[36:39], v1, s[4:5] offset:560
	v_mov_b32_e32 v1, 0
	v_cndmask_b32_e64 v138, v19, v50, s[0:1]
	v_lshl_add_u64 v[78:79], v[0:1], 3, s[4:5]
	v_lshlrev_b32_e32 v0, 1, v138
	v_lshl_add_u64 v[0:1], v[0:1], 3, s[4:5]
	global_load_dwordx4 v[40:43], v[0:1], off offset:560
	v_mul_u32_u24_sdwa v0, v63, s3 dst_sel:DWORD dst_unused:UNUSED_PAD src0_sel:WORD_0 src1_sel:DWORD
	v_lshrrev_b32_e32 v0, 22, v0
	v_mul_lo_u16_e32 v0, 0x48, v0
	v_sub_u16_e32 v63, v63, v0
	v_lshlrev_b32_e32 v0, 4, v63
	global_load_dwordx4 v[44:47], v0, s[4:5] offset:560
	global_load_dwordx4 v[74:77], v[78:79], off offset:560
	ds_read2_b64 v[78:81], v11 offset0:51 offset1:114
	ds_read2_b64 v[86:89], v5 offset0:43 offset1:106
	v_cmp_lt_u32_e64 s[0:1], 8, v48
	s_waitcnt vmcnt(7) lgkmcnt(1)
	v_pk_mul_f32 v[0:1], v[80:81], v[20:21] op_sel:[0,1]
	s_nop 0
	v_pk_fma_f32 v[82:83], v[80:81], v[20:21], v[0:1] op_sel:[0,0,1] op_sel_hi:[1,1,0]
	v_pk_fma_f32 v[0:1], v[80:81], v[20:21], v[0:1] op_sel:[0,0,1] op_sel_hi:[1,0,0] neg_lo:[0,0,1] neg_hi:[0,0,1]
	s_nop 0
	v_mov_b32_e32 v0, v23
	s_waitcnt lgkmcnt(0)
	v_pk_mul_f32 v[20:21], v[88:89], v[0:1] op_sel_hi:[1,0]
	s_waitcnt vmcnt(6)
	v_mov_b32_e32 v0, v27
	v_pk_fma_f32 v[80:81], v[88:89], v[22:23], v[20:21] op_sel:[0,0,1] op_sel_hi:[1,1,0]
	v_pk_fma_f32 v[88:89], v[88:89], v[22:23], v[20:21] op_sel:[0,0,1] op_sel_hi:[1,0,0] neg_lo:[0,0,1] neg_hi:[0,0,1]
	v_pk_mul_f32 v[20:21], v[78:79], v[24:25] op_sel:[0,1]
	v_mov_b32_e32 v83, v1
	v_pk_fma_f32 v[90:91], v[78:79], v[24:25], v[20:21] op_sel:[0,0,1] op_sel_hi:[1,1,0]
	v_pk_fma_f32 v[78:79], v[78:79], v[24:25], v[20:21] op_sel:[0,0,1] op_sel_hi:[1,0,0] neg_lo:[0,0,1] neg_hi:[0,0,1]
	ds_read2_b64 v[20:23], v6 offset0:181 offset1:244
	v_pk_mul_f32 v[24:25], v[86:87], v[0:1] op_sel_hi:[1,0]
	s_waitcnt vmcnt(5)
	v_mov_b32_e32 v0, v31
	v_pk_fma_f32 v[102:103], v[86:87], v[26:27], v[24:25] op_sel:[0,0,1] op_sel_hi:[1,1,0]
	v_pk_fma_f32 v[86:87], v[86:87], v[26:27], v[24:25] op_sel:[0,0,1] op_sel_hi:[1,0,0] neg_lo:[0,0,1] neg_hi:[0,0,1]
	ds_read2_b64 v[24:27], v7 offset0:173 offset1:236
	s_waitcnt lgkmcnt(1)
	v_pk_mul_f32 v[104:105], v[22:23], v[28:29] op_sel:[0,1]
	v_mov_b32_e32 v91, v79
	v_pk_fma_f32 v[106:107], v[22:23], v[28:29], v[104:105] op_sel:[0,0,1] op_sel_hi:[1,1,0]
	v_pk_fma_f32 v[28:29], v[22:23], v[28:29], v[104:105] op_sel:[0,0,1] op_sel_hi:[1,0,0] neg_lo:[0,0,1] neg_hi:[0,0,1]
	s_waitcnt lgkmcnt(0)
	v_pk_mul_f32 v[22:23], v[26:27], v[0:1] op_sel_hi:[1,0]
	s_waitcnt vmcnt(4)
	v_mov_b32_e32 v0, v35
	v_pk_fma_f32 v[104:105], v[26:27], v[30:31], v[22:23] op_sel:[0,0,1] op_sel_hi:[1,1,0]
	v_pk_fma_f32 v[30:31], v[26:27], v[30:31], v[22:23] op_sel:[0,0,1] op_sel_hi:[1,0,0] neg_lo:[0,0,1] neg_hi:[0,0,1]
	v_pk_mul_f32 v[22:23], v[20:21], v[32:33] op_sel:[0,1]
	v_pk_mul_f32 v[26:27], v[24:25], v[0:1] op_sel_hi:[1,0]
	v_pk_fma_f32 v[108:109], v[20:21], v[32:33], v[22:23] op_sel:[0,0,1] op_sel_hi:[1,1,0]
	v_pk_fma_f32 v[32:33], v[20:21], v[32:33], v[22:23] op_sel:[0,0,1] op_sel_hi:[1,0,0] neg_lo:[0,0,1] neg_hi:[0,0,1]
	ds_read2_b64 v[20:23], v6 offset0:55 offset1:118
	v_pk_fma_f32 v[110:111], v[24:25], v[34:35], v[26:27] op_sel:[0,0,1] op_sel_hi:[1,1,0]
	v_pk_fma_f32 v[34:35], v[24:25], v[34:35], v[26:27] op_sel:[0,0,1] op_sel_hi:[1,0,0] neg_lo:[0,0,1] neg_hi:[0,0,1]
	ds_read2_b64 v[24:27], v7 offset0:47 offset1:110
	s_waitcnt vmcnt(3)
	v_mov_b32_e32 v0, v39
	s_waitcnt lgkmcnt(1)
	v_pk_mul_f32 v[112:113], v[22:23], v[36:37] op_sel:[0,1]
	v_mov_b32_e32 v109, v33
	v_pk_fma_f32 v[114:115], v[22:23], v[36:37], v[112:113] op_sel:[0,0,1] op_sel_hi:[1,1,0]
	v_pk_fma_f32 v[36:37], v[22:23], v[36:37], v[112:113] op_sel:[0,0,1] op_sel_hi:[1,0,0] neg_lo:[0,0,1] neg_hi:[0,0,1]
	s_waitcnt lgkmcnt(0)
	v_pk_mul_f32 v[22:23], v[26:27], v[0:1] op_sel_hi:[1,0]
	s_waitcnt vmcnt(2)
	v_mov_b32_e32 v0, v43
	v_pk_fma_f32 v[112:113], v[26:27], v[38:39], v[22:23] op_sel:[0,0,1] op_sel_hi:[1,1,0]
	v_pk_fma_f32 v[26:27], v[26:27], v[38:39], v[22:23] op_sel:[0,0,1] op_sel_hi:[1,0,0] neg_lo:[0,0,1] neg_hi:[0,0,1]
	v_pk_mul_f32 v[22:23], v[40:41], v[20:21] op_sel:[0,1]
	v_mov_b32_e32 v115, v37
	v_pk_fma_f32 v[38:39], v[40:41], v[20:21], v[22:23] op_sel:[0,0,1] op_sel_hi:[1,1,0]
	v_pk_fma_f32 v[40:41], v[40:41], v[20:21], v[22:23] op_sel:[0,0,1] op_sel_hi:[1,0,0] neg_lo:[1,0,0] neg_hi:[1,0,0]
	v_pk_mul_f32 v[20:21], v[24:25], v[0:1] op_sel_hi:[1,0]
	s_waitcnt vmcnt(1)
	v_mov_b32_e32 v0, v47
	v_pk_fma_f32 v[116:117], v[24:25], v[42:43], v[20:21] op_sel:[0,0,1] op_sel_hi:[1,1,0]
	v_pk_fma_f32 v[24:25], v[24:25], v[42:43], v[20:21] op_sel:[0,0,1] op_sel_hi:[1,0,0] neg_lo:[0,0,1] neg_hi:[0,0,1]
	ds_read_b64 v[42:43], v92 offset:11592
	ds_read2_b64 v[20:23], v11 offset0:177 offset1:240
	ds_read_b64 v[118:119], v96
	ds_read_b64 v[120:121], v12
	;; [unrolled: 1-line block ×4, first 2 shown]
	s_waitcnt lgkmcnt(5)
	v_pk_mul_f32 v[124:125], v[42:43], v[0:1] op_sel_hi:[1,0]
	v_mov_b32_e32 v39, v41
	v_pk_fma_f32 v[126:127], v[42:43], v[46:47], v[124:125] op_sel:[0,0,1] op_sel_hi:[1,1,0]
	v_pk_fma_f32 v[42:43], v[42:43], v[46:47], v[124:125] op_sel:[0,0,1] op_sel_hi:[1,0,0] neg_lo:[0,0,1] neg_hi:[0,0,1]
	s_waitcnt lgkmcnt(4)
	v_pk_mul_f32 v[46:47], v[20:21], v[44:45] op_sel:[0,1]
	v_mov_b32_e32 v117, v25
	v_pk_fma_f32 v[124:125], v[20:21], v[44:45], v[46:47] op_sel:[0,0,1] op_sel_hi:[1,1,0]
	v_pk_fma_f32 v[20:21], v[20:21], v[44:45], v[46:47] op_sel:[0,0,1] op_sel_hi:[1,0,0] neg_lo:[0,0,1] neg_hi:[0,0,1]
	s_waitcnt vmcnt(0)
	v_pk_mul_f32 v[44:45], v[76:77], v[22:23] op_sel:[0,1]
	v_pk_add_f32 v[24:25], v[38:39], v[116:117] neg_lo:[0,1] neg_hi:[0,1]
	v_pk_fma_f32 v[46:47], v[76:77], v[22:23], v[44:45] op_sel:[0,0,1] op_sel_hi:[1,1,0]
	v_pk_fma_f32 v[22:23], v[76:77], v[22:23], v[44:45] op_sel:[0,0,1] op_sel_hi:[1,0,0] neg_lo:[1,0,0] neg_hi:[1,0,0]
	ds_read_b64 v[44:45], v17
	s_waitcnt lgkmcnt(1)
	v_pk_mul_f32 v[76:77], v[74:75], v[18:19] op_sel:[0,1]
	v_mov_b32_e32 v47, v23
	v_pk_fma_f32 v[128:129], v[74:75], v[18:19], v[76:77] op_sel:[0,0,1] op_sel_hi:[1,1,0]
	v_pk_fma_f32 v[18:19], v[74:75], v[18:19], v[76:77] op_sel:[0,0,1] op_sel_hi:[1,0,0] neg_lo:[1,0,0] neg_hi:[1,0,0]
	v_pk_mul_f32 v[24:25], v[24:25], s[2:3] op_sel_hi:[1,0]
	v_mov_b32_e32 v129, v19
	v_pk_add_f32 v[22:23], v[122:123], v[128:129]
	v_pk_add_f32 v[18:19], v[128:129], v[46:47]
	;; [unrolled: 1-line block ×3, first 2 shown]
	v_pk_add_f32 v[46:47], v[128:129], v[46:47] neg_lo:[0,1] neg_hi:[0,1]
	v_pk_fma_f32 v[18:19], v[18:19], 0.5, v[122:123] op_sel_hi:[1,0,1] neg_lo:[1,0,0] neg_hi:[1,0,0]
	v_pk_mul_f32 v[46:47], v[46:47], s[2:3] op_sel_hi:[1,0]
	v_mov_b32_e32 v0, 0x6c0
	v_pk_add_f32 v[74:75], v[18:19], v[46:47] op_sel:[0,1] op_sel_hi:[1,0] neg_lo:[0,1] neg_hi:[0,1]
	v_pk_add_f32 v[18:19], v[18:19], v[46:47] op_sel:[0,1] op_sel_hi:[1,0]
	ds_read_b64 v[16:17], v16
	ds_read_b64 v[46:47], v15
	;; [unrolled: 1-line block ×4, first 2 shown]
	v_mov_b32_e32 v123, v19
	v_mov_b32_e32 v19, v75
	s_waitcnt lgkmcnt(0)
	; wave barrier
	s_waitcnt lgkmcnt(0)
	ds_write_b64 v92, v[18:19] offset:1152
	v_pk_add_f32 v[18:19], v[38:39], v[116:117]
	v_mov_b32_e32 v122, v74
	v_pk_fma_f32 v[18:19], v[18:19], 0.5, v[118:119] op_sel_hi:[1,0,1] neg_lo:[1,0,0] neg_hi:[1,0,0]
	ds_write2_b64 v92, v[22:23], v[122:123] offset1:72
	v_pk_add_f32 v[22:23], v[118:119], v[38:39]
	v_pk_add_f32 v[38:39], v[18:19], v[24:25] op_sel:[0,1] op_sel_hi:[1,0] neg_lo:[0,1] neg_hi:[0,1]
	v_pk_add_f32 v[18:19], v[18:19], v[24:25] op_sel:[0,1] op_sel_hi:[1,0]
	v_cndmask_b32_e64 v0, 0, v0, s[0:1]
	v_lshlrev_b32_e32 v13, 3, v138
	v_pk_add_f32 v[22:23], v[22:23], v[116:117]
	v_add3_u32 v0, 0, v0, v13
	v_mov_b32_e32 v24, v38
	v_mov_b32_e32 v25, v19
	;; [unrolled: 1-line block ×4, first 2 shown]
	ds_write2_b64 v0, v[22:23], v[24:25] offset1:72
	ds_write_b64 v0, v[18:19] offset:1152
	v_pk_add_f32 v[18:19], v[114:115], v[112:113]
	v_pk_add_f32 v[24:25], v[114:115], v[112:113] neg_lo:[0,1] neg_hi:[0,1]
	v_pk_fma_f32 v[18:19], v[18:19], 0.5, v[120:121] op_sel_hi:[1,0,1] neg_lo:[1,0,0] neg_hi:[1,0,0]
	v_pk_mul_f32 v[24:25], v[24:25], s[2:3] op_sel_hi:[1,0]
	v_pk_add_f32 v[22:23], v[120:121], v[114:115]
	v_pk_add_f32 v[26:27], v[18:19], v[24:25] op_sel:[0,1] op_sel_hi:[1,0] neg_lo:[0,1] neg_hi:[0,1]
	v_pk_add_f32 v[18:19], v[18:19], v[24:25] op_sel:[0,1] op_sel_hi:[1,0]
	v_mul_u32_u24_e32 v0, 0x6c0, v3
	v_lshlrev_b32_sdwa v3, v2, v137 dst_sel:DWORD dst_unused:UNUSED_PAD src0_sel:DWORD src1_sel:BYTE_0
	v_pk_add_f32 v[22:23], v[22:23], v[112:113]
	v_add3_u32 v0, 0, v0, v3
	v_mov_b32_e32 v24, v26
	v_mov_b32_e32 v25, v19
	;; [unrolled: 1-line block ×4, first 2 shown]
	ds_write2_b64 v0, v[22:23], v[24:25] offset1:72
	ds_write_b64 v0, v[18:19] offset:1152
	v_pk_add_f32 v[18:19], v[108:109], v[110:111]
	v_pk_add_f32 v[24:25], v[108:109], v[110:111] neg_lo:[0,1] neg_hi:[0,1]
	v_pk_fma_f32 v[18:19], v[18:19], 0.5, v[76:77] op_sel_hi:[1,0,1] neg_lo:[1,0,0] neg_hi:[1,0,0]
	v_pk_mul_f32 v[24:25], v[24:25], s[2:3] op_sel_hi:[1,0]
	v_pk_add_f32 v[22:23], v[76:77], v[108:109]
	v_pk_add_f32 v[26:27], v[18:19], v[24:25] op_sel:[0,1] op_sel_hi:[1,0] neg_lo:[0,1] neg_hi:[0,1]
	v_pk_add_f32 v[18:19], v[18:19], v[24:25] op_sel:[0,1] op_sel_hi:[1,0]
	v_lshlrev_b32_sdwa v0, v2, v136 dst_sel:DWORD dst_unused:UNUSED_PAD src0_sel:DWORD src1_sel:BYTE_0
	v_mul_u32_u24_e32 v2, 0x6c0, v135
	v_pk_add_f32 v[22:23], v[22:23], v[110:111]
	v_add3_u32 v13, 0, v2, v0
	v_mov_b32_e32 v2, v26
	v_mov_b32_e32 v3, v19
	;; [unrolled: 1-line block ×5, first 2 shown]
	ds_write2_b64 v13, v[22:23], v[2:3] offset1:72
	ds_write_b64 v13, v[18:19] offset:1152
	v_pk_add_f32 v[18:19], v[106:107], v[104:105]
	v_pk_add_f32 v[22:23], v[106:107], v[104:105] neg_lo:[0,1] neg_hi:[0,1]
	v_pk_fma_f32 v[18:19], v[18:19], 0.5, v[14:15] op_sel_hi:[1,0,1] neg_lo:[1,0,0] neg_hi:[1,0,0]
	v_pk_mul_f32 v[22:23], v[22:23], s[2:3] op_sel_hi:[1,0]
	v_mul_u32_u24_e32 v0, 0x6c0, v133
	v_lshlrev_b32_e32 v1, 3, v134
	v_pk_add_f32 v[14:15], v[14:15], v[106:107]
	v_pk_add_f32 v[24:25], v[18:19], v[22:23] op_sel:[0,1] op_sel_hi:[1,0] neg_lo:[0,1] neg_hi:[0,1]
	v_pk_add_f32 v[18:19], v[18:19], v[22:23] op_sel:[0,1] op_sel_hi:[1,0]
	v_mov_b32_e32 v103, v87
	v_add3_u32 v26, 0, v0, v1
	v_pk_add_f32 v[14:15], v[14:15], v[104:105]
	v_mov_b32_e32 v22, v24
	v_mov_b32_e32 v23, v19
	;; [unrolled: 1-line block ×3, first 2 shown]
	ds_write2_b64 v26, v[14:15], v[22:23] offset1:72
	ds_write_b64 v26, v[18:19] offset:1152
	v_pk_add_f32 v[14:15], v[90:91], v[102:103]
	v_pk_add_f32 v[18:19], v[90:91], v[102:103] neg_lo:[0,1] neg_hi:[0,1]
	v_mov_b32_e32 v125, v21
	v_pk_fma_f32 v[14:15], v[14:15], 0.5, v[46:47] op_sel_hi:[1,0,1] neg_lo:[1,0,0] neg_hi:[1,0,0]
	v_pk_mul_f32 v[18:19], v[18:19], s[2:3] op_sel_hi:[1,0]
	v_mov_b32_e32 v127, v43
	v_pk_add_f32 v[20:21], v[44:45], v[124:125]
	v_mul_u32_u24_e32 v0, 0x6c0, v132
	v_lshlrev_b32_e32 v1, 3, v65
	v_pk_add_f32 v[22:23], v[14:15], v[18:19] op_sel:[0,1] op_sel_hi:[1,0] neg_lo:[0,1] neg_hi:[0,1]
	v_pk_add_f32 v[14:15], v[14:15], v[18:19] op_sel:[0,1] op_sel_hi:[1,0]
	v_pk_add_f32 v[2:3], v[124:125], v[126:127]
	v_pk_add_f32 v[74:75], v[20:21], v[126:127]
	v_pk_add_f32 v[20:21], v[124:125], v[126:127] neg_lo:[0,1] neg_hi:[0,1]
	v_mov_b32_e32 v81, v89
	v_add3_u32 v28, 0, v0, v1
	v_mul_u32_u24_e32 v0, 0x6c0, v130
	v_lshlrev_b32_e32 v1, 3, v131
	v_mov_b32_e32 v19, v15
	v_mov_b32_e32 v15, v23
	v_pk_fma_f32 v[2:3], v[2:3], 0.5, v[44:45] op_sel_hi:[1,0,1] neg_lo:[1,0,0] neg_hi:[1,0,0]
	v_add3_u32 v30, 0, v0, v1
	v_pk_mul_f32 v[0:1], v[20:21], s[2:3] op_sel_hi:[1,0]
	ds_write_b64 v28, v[14:15] offset:1152
	v_pk_add_f32 v[14:15], v[82:83], v[80:81]
	v_pk_add_f32 v[76:77], v[0:1], v[2:3] op_sel:[1,0] op_sel_hi:[0,1]
	v_pk_add_f32 v[0:1], v[2:3], v[0:1] op_sel:[0,1] op_sel_hi:[1,0] neg_lo:[0,1] neg_hi:[0,1]
	v_pk_add_f32 v[2:3], v[16:17], v[82:83]
	v_pk_add_f32 v[20:21], v[46:47], v[90:91]
	v_pk_fma_f32 v[14:15], v[14:15], 0.5, v[16:17] op_sel_hi:[1,0,1] neg_lo:[1,0,0] neg_hi:[1,0,0]
	v_pk_add_f32 v[16:17], v[82:83], v[80:81] neg_lo:[0,1] neg_hi:[0,1]
	v_pk_add_f32 v[20:21], v[20:21], v[102:103]
	v_mov_b32_e32 v18, v22
	v_pk_mul_f32 v[16:17], v[16:17], s[2:3] op_sel_hi:[1,0]
	ds_write2_b64 v28, v[20:21], v[18:19] offset1:72
	v_pk_add_f32 v[18:19], v[14:15], v[16:17] op_sel:[0,1] op_sel_hi:[1,0] neg_lo:[0,1] neg_hi:[0,1]
	v_pk_add_f32 v[14:15], v[14:15], v[16:17] op_sel:[0,1] op_sel_hi:[1,0]
	v_pk_add_f32 v[2:3], v[2:3], v[80:81]
	v_mov_b32_e32 v16, v18
	v_mov_b32_e32 v17, v15
	;; [unrolled: 1-line block ×3, first 2 shown]
	v_lshl_add_u32 v13, v63, 3, 0
	ds_write2_b64 v30, v[2:3], v[16:17] offset1:72
	ds_write_b64 v30, v[14:15] offset:1152
	v_mov_b32_e32 v2, v0
	v_mov_b32_e32 v3, v77
	v_add_u32_e32 v14, 0x2800, v13
	ds_write2_b64 v14, v[74:75], v[2:3] offset0:16 offset1:88
	v_mov_b32_e32 v2, v76
	v_mov_b32_e32 v3, v1
	ds_write_b64 v13, v[2:3] offset:11520
	s_waitcnt lgkmcnt(0)
	; wave barrier
	s_waitcnt lgkmcnt(0)
	ds_read2_b64 v[20:23], v8 offset0:176 offset1:239
	ds_read2_b64 v[36:39], v6 offset0:46 offset1:136
	ds_read2_b64 v[44:47], v11 offset0:96 offset1:159
	ds_read2_b64 v[24:27], v9 offset0:94 offset1:184
	ds_read2_b64 v[16:19], v5 offset0:16 offset1:79
	ds_read2_b64 v[32:35], v8 offset0:23 offset1:86
	ds_read2_b64 v[40:43], v10 offset0:71 offset1:134
	ds_read2_b64 v[28:31], v7 offset0:119 offset1:182
	ds_read_b64 v[78:79], v12
	ds_read_b64 v[80:81], v96
	ds_read_b64 v[82:83], v92 offset:11376
	ds_read2_b64 v[12:15], v92 offset1:216
	v_cmp_gt_u32_e64 s[0:1], 27, v48
	v_cmp_lt_u32_e64 s[2:3], 26, v48
	v_sub_u32_e32 v2, 0, v85
	s_and_saveexec_b64 s[6:7], s[2:3]
	s_xor_b64 s[2:3], exec, s[6:7]
	s_or_saveexec_b64 s[2:3], s[2:3]
	v_sub_u32_e32 v63, 0, v84
	v_add_u32_e32 v102, v4, v2
                                        ; implicit-def: $vgpr6
                                        ; implicit-def: $vgpr10
	s_xor_b64 exec, exec, s[2:3]
	s_cbranch_execz .LBB0_15
; %bb.14:
	v_add_u32_e32 v0, 0xc00, v92
	ds_read2_b64 v[0:3], v0 offset0:21 offset1:237
	v_add_u32_e32 v4, 0x1a00, v92
	v_add_u32_e32 v8, 0x2700, v92
	ds_read_b64 v[74:75], v102
	ds_read2_b64 v[4:7], v4 offset0:5 offset1:221
	ds_read2_b64 v[8:11], v8 offset0:21 offset1:237
	s_waitcnt lgkmcnt(3)
	v_mov_b32_e32 v76, v2
	v_mov_b32_e32 v77, v1
	;; [unrolled: 1-line block ×3, first 2 shown]
.LBB0_15:
	s_or_b64 exec, exec, s[2:3]
	v_mul_u32_u24_e32 v2, 6, v48
	v_lshlrev_b32_e32 v65, 3, v2
	v_mul_i32_i24_e32 v2, 6, v50
	v_mov_b32_e32 v3, 0
	global_load_dwordx4 v[84:87], v65, s[4:5] offset:1728
	v_lshl_add_u64 v[88:89], v[2:3], 3, s[4:5]
	global_load_dwordx4 v[104:107], v[88:89], off offset:1728
	v_mul_i32_i24_e32 v2, 6, v72
	v_lshl_add_u64 v[90:91], v[2:3], 3, s[4:5]
	global_load_dwordx4 v[108:111], v[90:91], off offset:1728
	global_load_dwordx4 v[112:115], v[90:91], off offset:1712
	;; [unrolled: 1-line block ×3, first 2 shown]
	global_load_dwordx4 v[120:123], v65, s[4:5] offset:1712
	global_load_dwordx4 v[124:127], v[88:89], off offset:1744
	global_load_dwordx4 v[128:131], v65, s[4:5] offset:1744
	global_load_dwordx4 v[132:135], v[88:89], off offset:1712
	s_waitcnt lgkmcnt(10)
	v_mov_b32_e32 v90, v39
	v_mov_b32_e32 v91, v38
	s_waitcnt lgkmcnt(9)
	v_mov_b32_e32 v136, v45
	v_mov_b32_e32 v137, v44
	;; [unrolled: 3-line block ×3, first 2 shown]
	s_waitcnt lgkmcnt(4)
	v_mov_b32_e32 v140, v31
	s_waitcnt lgkmcnt(1)
	v_mov_b32_e32 v142, v83
	s_mov_b32 s6, 0x3f08b237
	s_mov_b32 s14, 0x3d64c772
	s_mov_b32 s7, 0xbeae86e6
	s_mov_b32 s15, 0x3f4a47b2
	s_mov_b32 s8, s7
	s_mov_b32 s9, s6
	s_mov_b32 s18, 0x3f955555
	s_mov_b32 s16, s15
	s_mov_b32 s17, s14
	s_mov_b32 s2, 0xbee1c552
	s_waitcnt lgkmcnt(0)
	; wave barrier
	s_waitcnt lgkmcnt(0)
	s_mov_b32 s10, 0xbf5ff5aa
	s_mov_b32 s12, 0x3f3bfb3b
	s_waitcnt vmcnt(8)
	v_pk_mul_f32 v[88:89], v[84:85], v[90:91]
	v_pk_mul_f32 v[144:145], v[84:85], v[38:39] op_sel_hi:[1,0]
	v_mov_b32_e32 v38, v85
	v_pk_mul_f32 v[148:149], v[86:87], v[136:137]
	s_waitcnt vmcnt(7)
	v_mov_b32_e32 v88, v107
	v_pk_mul_f32 v[152:153], v[46:47], v[106:107] op_sel:[1,0] op_sel_hi:[0,1]
	v_pk_mul_f32 v[156:157], v[40:41], v[104:105] op_sel:[1,0] op_sel_hi:[0,1]
	v_pk_mul_f32 v[146:147], v[86:87], v[44:45] op_sel_hi:[1,0]
	v_mov_b32_e32 v44, v87
	v_mov_b32_e32 v148, v105
	;; [unrolled: 1-line block ×4, first 2 shown]
	v_pk_mul_f32 v[158:159], v[46:47], v[88:89] op_sel:[1,0] op_sel_hi:[0,1]
	v_mov_b32_e32 v88, v153
	v_pk_mul_f32 v[160:161], v[38:39], v[90:91]
	v_mov_b32_e32 v38, v157
	s_waitcnt vmcnt(5)
	v_pk_mul_f32 v[166:167], v[36:37], v[114:115] op_sel_hi:[0,1]
	v_pk_mul_f32 v[168:169], v[42:43], v[108:109] op_sel:[1,0] op_sel_hi:[0,1]
	v_pk_mul_f32 v[170:171], v[34:35], v[112:113] op_sel_hi:[0,1]
	s_waitcnt vmcnt(4)
	v_pk_mul_f32 v[174:175], v[82:83], v[118:119] op_sel_hi:[0,1]
	v_pk_mul_f32 v[176:177], v[30:31], v[116:117] op_sel_hi:[0,1]
	v_pk_mul_f32 v[150:151], v[40:41], v[104:105]
	v_pk_mul_f32 v[154:155], v[46:47], v[106:107]
	;; [unrolled: 1-line block ×3, first 2 shown]
	v_pk_mul_f32 v[148:149], v[40:41], v[148:149] op_sel:[1,0] op_sel_hi:[0,1]
	v_mov_b32_e32 v164, v109
	v_mov_b32_e32 v168, v111
	v_pk_mul_f32 v[178:179], v[24:25], v[110:111] op_sel:[1,0] op_sel_hi:[0,1]
	v_pk_fma_f32 v[152:153], v[84:85], v[90:91], v[152:153] neg_lo:[0,0,1] neg_hi:[0,0,1]
	v_pk_fma_f32 v[136:137], v[86:87], v[136:137], v[156:157] neg_lo:[0,0,1] neg_hi:[0,0,1]
	v_pk_fma_f32 v[88:89], v[46:47], v[106:107], v[88:89] op_sel:[1,0,0] op_sel_hi:[0,1,1] neg_lo:[0,0,1] neg_hi:[0,0,1]
	v_pk_fma_f32 v[90:91], v[40:41], v[104:105], v[38:39] op_sel:[1,0,0] op_sel_hi:[0,1,1] neg_lo:[0,0,1] neg_hi:[0,0,1]
	v_pk_fma_f32 v[36:37], v[36:37], v[114:115], v[166:167] op_sel:[1,0,1] op_sel_hi:[1,1,0]
	v_pk_fma_f32 v[46:47], v[138:139], v[114:115], v[166:167] op_sel:[0,0,1] op_sel_hi:[1,1,0] neg_lo:[0,0,1] neg_hi:[0,0,1]
	v_pk_fma_f32 v[38:39], v[2:3], v[112:113], v[170:171] op_sel:[0,0,1] op_sel_hi:[1,1,0] neg_lo:[0,0,1] neg_hi:[0,0,1]
	v_pk_fma_f32 v[34:35], v[34:35], v[112:113], v[170:171] op_sel:[1,0,1] op_sel_hi:[1,1,0]
	v_pk_fma_f32 v[40:41], v[142:143], v[118:119], v[174:175] op_sel:[0,0,1] op_sel_hi:[1,1,0] neg_lo:[0,0,1] neg_hi:[0,0,1]
	v_pk_fma_f32 v[86:87], v[82:83], v[118:119], v[174:175] op_sel:[1,0,1] op_sel_hi:[1,1,0]
	;; [unrolled: 2-line block ×3, first 2 shown]
	v_pk_mul_f32 v[44:45], v[42:43], v[108:109]
	v_pk_mul_f32 v[172:173], v[24:25], v[110:111]
	v_pk_mul_f32 v[106:107], v[42:43], v[164:165] op_sel:[1,0] op_sel_hi:[0,1]
	v_mov_b32_e32 v2, v169
	v_pk_mul_f32 v[112:113], v[24:25], v[168:169] op_sel:[1,0] op_sel_hi:[0,1]
	v_mov_b32_e32 v30, v179
	v_mov_b32_e32 v39, v35
	;; [unrolled: 1-line block ×5, first 2 shown]
	v_pk_fma_f32 v[84:85], v[42:43], v[108:109], v[2:3] op_sel:[1,0,0] op_sel_hi:[0,1,1] neg_lo:[0,0,1] neg_hi:[0,0,1]
	v_pk_fma_f32 v[82:83], v[24:25], v[110:111], v[30:31] op_sel:[1,0,0] op_sel_hi:[0,1,1] neg_lo:[0,0,1] neg_hi:[0,0,1]
	v_mov_b32_e32 v173, v38
	v_mov_b32_e32 v113, v40
	;; [unrolled: 1-line block ×4, first 2 shown]
	v_pk_add_f32 v[24:25], v[38:39], v[40:41]
	v_pk_add_f32 v[38:39], v[38:39], v[40:41] neg_lo:[0,1] neg_hi:[0,1]
	v_pk_add_f32 v[40:41], v[46:47], v[104:105]
	v_pk_add_f32 v[42:43], v[46:47], v[104:105] neg_lo:[0,1] neg_hi:[0,1]
	v_mov_b32_e32 v2, v33
	s_waitcnt vmcnt(0)
	v_pk_mul_f32 v[104:105], v[132:133], v[32:33] op_sel_hi:[1,0]
	v_pk_add_f32 v[36:37], v[44:45], v[106:107]
	v_pk_fma_f32 v[106:107], v[132:133], v[2:3], v[104:105] op_sel:[0,0,1] op_sel_hi:[1,1,0] neg_lo:[0,0,1] neg_hi:[0,0,1]
	v_pk_fma_f32 v[32:33], v[132:133], v[32:33], v[104:105] op_sel:[0,1,1] op_sel_hi:[1,1,0]
	v_mov_b32_e32 v2, v23
	v_mov_b32_e32 v107, v33
	v_pk_mul_f32 v[32:33], v[134:135], v[22:23] op_sel_hi:[1,0]
	v_pk_mul_f32 v[116:117], v[120:121], v[14:15] op_sel_hi:[1,0]
	v_pk_fma_f32 v[104:105], v[134:135], v[2:3], v[32:33] op_sel:[0,0,1] op_sel_hi:[1,1,0] neg_lo:[0,0,1] neg_hi:[0,0,1]
	v_pk_fma_f32 v[22:23], v[134:135], v[22:23], v[32:33] op_sel:[0,1,1] op_sel_hi:[1,1,0]
	v_mov_b32_e32 v2, v29
	v_mov_b32_e32 v105, v23
	v_pk_mul_f32 v[22:23], v[28:29], v[124:125] op_sel_hi:[0,1]
	v_pk_fma_f32 v[32:33], v[2:3], v[124:125], v[22:23] op_sel:[0,0,1] op_sel_hi:[1,1,0] neg_lo:[0,0,1] neg_hi:[0,0,1]
	v_pk_fma_f32 v[22:23], v[28:29], v[124:125], v[22:23] op_sel:[1,0,1] op_sel_hi:[1,1,0]
	v_mov_b32_e32 v2, v19
	v_mov_b32_e32 v33, v23
	v_pk_mul_f32 v[22:23], v[18:19], v[126:127] op_sel_hi:[0,1]
	v_pk_fma_f32 v[28:29], v[2:3], v[126:127], v[22:23] op_sel:[0,0,1] op_sel_hi:[1,1,0] neg_lo:[0,0,1] neg_hi:[0,0,1]
	v_mov_b32_e32 v2, v15
	v_pk_fma_f32 v[118:119], v[120:121], v[2:3], v[116:117] op_sel:[0,0,1] op_sel_hi:[1,1,0] neg_lo:[0,0,1] neg_hi:[0,0,1]
	v_pk_fma_f32 v[14:15], v[120:121], v[14:15], v[116:117] op_sel:[0,1,1] op_sel_hi:[1,1,0]
	v_mov_b32_e32 v2, v21
	v_mov_b32_e32 v119, v15
	v_pk_mul_f32 v[14:15], v[122:123], v[20:21] op_sel_hi:[1,0]
	v_mov_b32_e32 v147, v118
	v_pk_fma_f32 v[116:117], v[122:123], v[2:3], v[14:15] op_sel:[0,0,1] op_sel_hi:[1,1,0] neg_lo:[0,0,1] neg_hi:[0,0,1]
	v_pk_fma_f32 v[14:15], v[122:123], v[20:21], v[14:15] op_sel:[0,1,1] op_sel_hi:[1,1,0]
	v_mov_b32_e32 v2, v27
	v_mov_b32_e32 v117, v15
	v_pk_mul_f32 v[14:15], v[128:129], v[26:27] op_sel_hi:[1,0]
	;; [unrolled: 6-line block ×3, first 2 shown]
	v_mov_b32_e32 v161, v20
	v_pk_fma_f32 v[26:27], v[130:131], v[2:3], v[14:15] op_sel:[0,0,1] op_sel_hi:[1,1,0] neg_lo:[0,0,1] neg_hi:[0,0,1]
	v_pk_fma_f32 v[14:15], v[130:131], v[16:17], v[14:15] op_sel:[0,1,1] op_sel_hi:[1,1,0]
	v_mov_b32_e32 v163, v26
	v_mov_b32_e32 v27, v15
	v_pk_add_f32 v[14:15], v[118:119], v[26:27]
	v_pk_add_f32 v[16:17], v[118:119], v[26:27] neg_lo:[0,1] neg_hi:[0,1]
	v_pk_add_f32 v[120:121], v[116:117], v[20:21]
	v_pk_add_f32 v[122:123], v[116:117], v[20:21] neg_lo:[0,1] neg_hi:[0,1]
	v_pk_add_f32 v[26:27], v[146:147], v[162:163]
	v_pk_add_f32 v[20:21], v[144:145], v[160:161]
	v_mov_b32_e32 v137, v26
	v_mov_b32_e32 v153, v20
	;; [unrolled: 1-line block ×6, first 2 shown]
	v_pk_add_f32 v[116:117], v[136:137], v[152:153] neg_lo:[0,1] neg_hi:[0,1]
	v_pk_add_f32 v[128:129], v[128:129], v[130:131]
	v_pk_add_f32 v[130:131], v[20:21], v[26:27]
	v_mov_b32_e32 v118, v116
	v_mov_b32_e32 v119, v17
	;; [unrolled: 1-line block ×7, first 2 shown]
	v_pk_fma_f32 v[18:19], v[18:19], v[126:127], v[22:23] op_sel:[1,0,1] op_sel_hi:[1,1,0]
	v_pk_add_f32 v[118:119], v[118:119], v[124:125] neg_lo:[0,1] neg_hi:[0,1]
	v_mov_b32_e32 v124, v16
	v_mov_b32_e32 v126, v116
	v_mov_b32_e32 v127, v123
	v_pk_add_f32 v[132:133], v[26:27], v[132:133] neg_lo:[0,1] neg_hi:[0,1]
	v_mov_b32_e32 v134, v15
	v_mov_b32_e32 v135, v129
	;; [unrolled: 1-line block ×3, first 2 shown]
	v_pk_add_f32 v[128:129], v[128:129], v[130:131]
	v_pk_mul_f32 v[118:119], v[118:119], s[6:7]
	v_pk_add_f32 v[124:125], v[124:125], v[126:127] neg_lo:[0,1] neg_hi:[0,1]
	v_pk_add_f32 v[116:117], v[116:117], v[122:123]
	v_pk_add_f32 v[134:135], v[134:135], v[20:21] neg_lo:[0,1] neg_hi:[0,1]
	v_pk_add_f32 v[12:13], v[12:13], v[128:129]
	v_pk_mul_f32 v[130:131], v[132:133], s[14:15]
	v_pk_mul_f32 v[126:127], v[124:125], s[8:9]
	v_pk_add_f32 v[116:117], v[116:117], v[16:17]
	v_pk_mul_f32 v[132:133], v[134:135], s[16:17]
	v_pk_fma_f32 v[128:129], v[128:129], s[18:19], v[12:13] op_sel_hi:[1,0,1] neg_lo:[1,0,0] neg_hi:[1,0,0]
	v_pk_fma_f32 v[134:135], v[134:135], s[16:17], v[130:131]
	v_pk_fma_f32 v[124:125], v[124:125], s[8:9], v[118:119]
	v_pk_add_f32 v[134:135], v[134:135], v[128:129]
	v_pk_fma_f32 v[124:125], v[116:117], s[2:3], v[124:125] op_sel_hi:[1,0,1]
	v_mov_b32_e32 v20, v121
	v_pk_add_f32 v[136:137], v[134:135], v[124:125]
	v_pk_add_f32 v[124:125], v[134:135], v[124:125] neg_lo:[0,1] neg_hi:[0,1]
	v_mov_b32_e32 v134, v136
	v_mov_b32_e32 v135, v125
	;; [unrolled: 1-line block ×3, first 2 shown]
	ds_write2_b64 v92, v[12:13], v[134:135] offset1:216
	v_pk_add_f32 v[12:13], v[122:123], v[16:17] neg_lo:[0,1] neg_hi:[0,1]
	v_pk_add_f32 v[14:15], v[20:21], v[26:27] neg_lo:[0,1] neg_hi:[0,1]
	v_mov_b32_e32 v16, v132
	v_mov_b32_e32 v17, v131
	;; [unrolled: 1-line block ×6, first 2 shown]
	v_pk_fma_f32 v[16:17], v[14:15], s[12:13], v[16:17] op_sel_hi:[1,0,1] neg_lo:[1,0,1] neg_hi:[1,0,1]
	v_pk_fma_f32 v[20:21], v[12:13], s[10:11], v[20:21] op_sel_hi:[1,0,1] neg_lo:[1,0,1] neg_hi:[1,0,1]
	;; [unrolled: 1-line block ×4, first 2 shown]
	v_pk_add_f32 v[16:17], v[16:17], v[128:129]
	v_pk_fma_f32 v[20:21], v[116:117], s[2:3], v[20:21] op_sel_hi:[1,0,1]
	v_pk_add_f32 v[14:15], v[14:15], v[128:129]
	v_pk_fma_f32 v[12:13], v[116:117], s[2:3], v[12:13] op_sel_hi:[1,0,1]
	v_pk_add_f32 v[26:27], v[16:17], v[20:21]
	v_pk_add_f32 v[16:17], v[16:17], v[20:21] neg_lo:[0,1] neg_hi:[0,1]
	v_pk_add_f32 v[116:117], v[14:15], v[12:13] neg_lo:[0,1] neg_hi:[0,1]
	v_pk_add_f32 v[12:13], v[14:15], v[12:13]
	v_mov_b32_e32 v29, v19
	v_mov_b32_e32 v155, v106
	;; [unrolled: 1-line block ×9, first 2 shown]
	v_add_u32_e32 v2, 0xd00, v92
	v_pk_add_f32 v[18:19], v[106:107], v[28:29]
	v_pk_add_f32 v[22:23], v[106:107], v[28:29] neg_lo:[0,1] neg_hi:[0,1]
	v_pk_add_f32 v[108:109], v[104:105], v[32:33]
	v_pk_add_f32 v[110:111], v[104:105], v[32:33] neg_lo:[0,1] neg_hi:[0,1]
	v_pk_add_f32 v[28:29], v[154:155], v[158:159]
	v_pk_add_f32 v[32:33], v[150:151], v[148:149]
	ds_write2_b64 v2, v[20:21], v[14:15] offset0:16 offset1:232
	v_mov_b32_e32 v13, v117
	v_mov_b32_e32 v17, v27
	v_add_u32_e32 v2, 0x1a00, v92
	v_mov_b32_e32 v89, v28
	v_mov_b32_e32 v91, v32
	ds_write2_b64 v2, v[12:13], v[16:17] offset0:32 offset1:248
	v_mov_b32_e32 v12, v109
	v_mov_b32_e32 v13, v90
	;; [unrolled: 1-line block ×4, first 2 shown]
	v_pk_add_f32 v[104:105], v[88:89], v[90:91] neg_lo:[0,1] neg_hi:[0,1]
	v_pk_add_f32 v[12:13], v[12:13], v[14:15]
	v_pk_add_f32 v[14:15], v[32:33], v[28:29]
	;; [unrolled: 1-line block ×3, first 2 shown]
	v_mov_b32_e32 v106, v104
	v_mov_b32_e32 v107, v23
	;; [unrolled: 1-line block ×7, first 2 shown]
	v_pk_add_f32 v[106:107], v[106:107], v[112:113] neg_lo:[0,1] neg_hi:[0,1]
	v_mov_b32_e32 v112, v22
	v_mov_b32_e32 v114, v104
	;; [unrolled: 1-line block ×3, first 2 shown]
	v_pk_add_f32 v[16:17], v[28:29], v[16:17] neg_lo:[0,1] neg_hi:[0,1]
	v_mov_b32_e32 v20, v19
	v_mov_b32_e32 v21, v13
	;; [unrolled: 1-line block ×3, first 2 shown]
	v_pk_add_f32 v[12:13], v[12:13], v[14:15]
	v_pk_mul_f32 v[106:107], v[106:107], s[6:7]
	v_pk_add_f32 v[112:113], v[112:113], v[114:115] neg_lo:[0,1] neg_hi:[0,1]
	v_pk_add_f32 v[104:105], v[104:105], v[110:111]
	v_pk_add_f32 v[20:21], v[20:21], v[32:33] neg_lo:[0,1] neg_hi:[0,1]
	v_pk_add_f32 v[14:15], v[80:81], v[12:13]
	v_pk_mul_f32 v[16:17], v[16:17], s[14:15]
	v_pk_add_f32 v[104:105], v[104:105], v[22:23]
	v_pk_mul_f32 v[26:27], v[20:21], s[16:17]
	v_pk_fma_f32 v[12:13], v[12:13], s[18:19], v[14:15] op_sel_hi:[1,0,1] neg_lo:[1,0,0] neg_hi:[1,0,0]
	v_pk_fma_f32 v[20:21], v[20:21], s[16:17], v[16:17]
	v_pk_fma_f32 v[80:81], v[112:113], s[8:9], v[106:107]
	v_pk_add_f32 v[20:21], v[20:21], v[12:13]
	v_pk_fma_f32 v[80:81], v[104:105], s[2:3], v[80:81] op_sel_hi:[1,0,1]
	v_pk_mul_f32 v[114:115], v[112:113], s[8:9]
	v_pk_add_f32 v[88:89], v[20:21], v[80:81]
	v_pk_add_f32 v[20:21], v[20:21], v[80:81] neg_lo:[0,1] neg_hi:[0,1]
	v_mov_b32_e32 v125, v137
	v_mov_b32_e32 v80, v88
	;; [unrolled: 1-line block ×5, first 2 shown]
	ds_write_b64 v92, v[124:125] offset:10368
	ds_write2_b64 v96, v[14:15], v[80:81] offset1:216
	v_pk_add_f32 v[14:15], v[110:111], v[22:23] neg_lo:[0,1] neg_hi:[0,1]
	v_pk_add_f32 v[18:19], v[32:33], v[28:29] neg_lo:[0,1] neg_hi:[0,1]
	v_mov_b32_e32 v22, v26
	v_mov_b32_e32 v23, v17
	;; [unrolled: 1-line block ×6, first 2 shown]
	v_pk_fma_f32 v[22:23], v[18:19], s[12:13], v[22:23] op_sel_hi:[1,0,1] neg_lo:[1,0,1] neg_hi:[1,0,1]
	v_pk_fma_f32 v[28:29], v[14:15], s[10:11], v[28:29] op_sel_hi:[1,0,1] neg_lo:[1,0,1] neg_hi:[1,0,1]
	;; [unrolled: 1-line block ×4, first 2 shown]
	v_pk_add_f32 v[22:23], v[22:23], v[12:13]
	v_pk_fma_f32 v[28:29], v[104:105], s[2:3], v[28:29] op_sel_hi:[1,0,1]
	v_pk_add_f32 v[12:13], v[16:17], v[12:13]
	v_pk_fma_f32 v[14:15], v[104:105], s[2:3], v[14:15] op_sel_hi:[1,0,1]
	v_pk_add_f32 v[32:33], v[22:23], v[28:29]
	v_pk_add_f32 v[22:23], v[22:23], v[28:29] neg_lo:[0,1] neg_hi:[0,1]
	v_pk_add_f32 v[16:17], v[12:13], v[14:15] neg_lo:[0,1] neg_hi:[0,1]
	v_pk_add_f32 v[12:13], v[12:13], v[14:15]
	v_mov_b32_e32 v28, v32
	v_mov_b32_e32 v29, v23
	;; [unrolled: 1-line block ×4, first 2 shown]
	v_add_u32_e32 v2, 0xd00, v96
	ds_write2_b64 v2, v[28:29], v[14:15] offset0:16 offset1:232
	v_mov_b32_e32 v13, v17
	v_mov_b32_e32 v23, v33
	v_add_u32_e32 v2, 0x1a00, v96
	v_mov_b32_e32 v83, v34
	v_mov_b32_e32 v85, v36
	ds_write2_b64 v2, v[12:13], v[22:23] offset0:32 offset1:248
	v_mov_b32_e32 v12, v41
	v_mov_b32_e32 v13, v84
	;; [unrolled: 1-line block ×4, first 2 shown]
	v_pk_add_f32 v[44:45], v[82:83], v[84:85] neg_lo:[0,1] neg_hi:[0,1]
	v_pk_add_f32 v[12:13], v[12:13], v[14:15]
	v_pk_add_f32 v[14:15], v[36:37], v[34:35]
	v_mov_b32_e32 v30, v44
	v_mov_b32_e32 v31, v39
	v_mov_b32_e32 v46, v42
	v_mov_b32_e32 v47, v45
	v_mov_b32_e32 v34, v14
	v_mov_b32_e32 v16, v41
	v_mov_b32_e32 v17, v13
	v_pk_add_f32 v[30:31], v[30:31], v[46:47] neg_lo:[0,1] neg_hi:[0,1]
	v_mov_b32_e32 v46, v38
	v_mov_b32_e32 v86, v44
	;; [unrolled: 1-line block ×3, first 2 shown]
	v_pk_add_f32 v[16:17], v[34:35], v[16:17] neg_lo:[0,1] neg_hi:[0,1]
	v_mov_b32_e32 v18, v25
	v_mov_b32_e32 v19, v13
	;; [unrolled: 1-line block ×3, first 2 shown]
	v_pk_add_f32 v[12:13], v[12:13], v[14:15]
	v_pk_mul_f32 v[30:31], v[30:31], s[6:7]
	v_pk_add_f32 v[86:87], v[46:47], v[86:87] neg_lo:[0,1] neg_hi:[0,1]
	v_pk_add_f32 v[44:45], v[44:45], v[42:43]
	v_mov_b32_e32 v21, v89
	v_pk_add_f32 v[18:19], v[18:19], v[36:37] neg_lo:[0,1] neg_hi:[0,1]
	v_pk_add_f32 v[14:15], v[78:79], v[12:13]
	v_pk_mul_f32 v[16:17], v[16:17], s[14:15]
	v_pk_add_f32 v[44:45], v[44:45], v[38:39]
	ds_write_b64 v96, v[20:21] offset:10368
	v_pk_mul_f32 v[20:21], v[18:19], s[16:17]
	v_pk_fma_f32 v[22:23], v[12:13], s[18:19], v[14:15] op_sel_hi:[1,0,1] neg_lo:[1,0,0] neg_hi:[1,0,0]
	v_pk_fma_f32 v[12:13], v[18:19], s[16:17], v[16:17]
	v_pk_fma_f32 v[18:19], v[86:87], s[8:9], v[30:31]
	v_pk_add_f32 v[12:13], v[12:13], v[22:23]
	v_pk_fma_f32 v[18:19], v[44:45], s[2:3], v[18:19] op_sel_hi:[1,0,1]
	v_pk_mul_f32 v[46:47], v[86:87], s[8:9]
	v_pk_add_f32 v[26:27], v[12:13], v[18:19]
	v_pk_add_f32 v[18:19], v[12:13], v[18:19] neg_lo:[0,1] neg_hi:[0,1]
	v_add_u32_e32 v12, v51, v63
	v_mov_b32_e32 v28, v26
	v_mov_b32_e32 v29, v19
	;; [unrolled: 1-line block ×4, first 2 shown]
	ds_write2_b64 v12, v[14:15], v[28:29] offset1:216
	v_pk_add_f32 v[14:15], v[42:43], v[38:39] neg_lo:[0,1] neg_hi:[0,1]
	v_pk_add_f32 v[24:25], v[36:37], v[34:35] neg_lo:[0,1] neg_hi:[0,1]
	v_mov_b32_e32 v28, v20
	v_mov_b32_e32 v29, v17
	;; [unrolled: 1-line block ×6, first 2 shown]
	v_pk_fma_f32 v[28:29], v[24:25], s[12:13], v[28:29] op_sel_hi:[1,0,1] neg_lo:[1,0,1] neg_hi:[1,0,1]
	v_pk_fma_f32 v[32:33], v[14:15], s[10:11], v[32:33] op_sel_hi:[1,0,1] neg_lo:[1,0,1] neg_hi:[1,0,1]
	;; [unrolled: 1-line block ×4, first 2 shown]
	v_pk_add_f32 v[28:29], v[28:29], v[22:23]
	v_pk_fma_f32 v[32:33], v[44:45], s[2:3], v[32:33] op_sel_hi:[1,0,1]
	v_pk_add_f32 v[16:17], v[16:17], v[22:23]
	v_pk_fma_f32 v[14:15], v[44:45], s[2:3], v[14:15] op_sel_hi:[1,0,1]
	v_pk_add_f32 v[34:35], v[28:29], v[32:33]
	v_pk_add_f32 v[28:29], v[28:29], v[32:33] neg_lo:[0,1] neg_hi:[0,1]
	v_pk_add_f32 v[20:21], v[16:17], v[14:15] neg_lo:[0,1] neg_hi:[0,1]
	v_pk_add_f32 v[14:15], v[16:17], v[14:15]
	v_mov_b32_e32 v32, v34
	v_mov_b32_e32 v33, v29
	;; [unrolled: 1-line block ×4, first 2 shown]
	v_add_u32_e32 v2, 0xd00, v12
	ds_write2_b64 v2, v[32:33], v[16:17] offset0:16 offset1:232
	v_mov_b32_e32 v15, v21
	v_mov_b32_e32 v29, v35
	v_add_u32_e32 v2, 0x1a00, v12
	v_mov_b32_e32 v19, v27
	ds_write2_b64 v2, v[14:15], v[28:29] offset0:32 offset1:248
	ds_write_b64 v12, v[18:19] offset:10368
	s_and_saveexec_b64 s[18:19], s[0:1]
	s_cbranch_execz .LBB0_17
; %bb.16:
	v_subrev_u32_e32 v2, 27, v48
	v_cndmask_b32_e64 v2, v2, v70, s[0:1]
	v_mul_i32_i24_e32 v2, 6, v2
	v_lshl_add_u64 v[2:3], v[2:3], 3, s[4:5]
	global_load_dwordx4 v[14:17], v[2:3], off offset:1712
	global_load_dwordx4 v[18:21], v[2:3], off offset:1744
	;; [unrolled: 1-line block ×3, first 2 shown]
	v_mov_b32_e32 v2, v7
	v_mov_b32_e32 v3, v6
	;; [unrolled: 1-line block ×6, first 2 shown]
	s_mov_b32 s0, 0xbf955555
	v_add_u32_e32 v13, 0x500, v92
	s_waitcnt vmcnt(2)
	v_pk_mul_f32 v[32:33], v[0:1], v[14:15] op_sel_hi:[0,1]
	s_waitcnt vmcnt(1)
	v_pk_mul_f32 v[10:11], v[10:11], v[20:21] op_sel_hi:[0,1]
	s_waitcnt vmcnt(0)
	v_mov_b32_e32 v34, v25
	v_mov_b32_e32 v36, v23
	v_pk_mul_f32 v[38:39], v[76:77], v[16:17] op_sel_hi:[0,1]
	v_pk_mul_f32 v[8:9], v[8:9], v[18:19] op_sel_hi:[0,1]
	v_pk_mul_f32 v[6:7], v[6:7], v[24:25]
	v_pk_mul_f32 v[4:5], v[4:5], v[22:23]
	;; [unrolled: 1-line block ×6, first 2 shown]
	v_pk_fma_f32 v[44:45], v[28:29], v[20:21], v[10:11] op_sel:[0,0,1] op_sel_hi:[0,1,0] neg_lo:[0,0,1] neg_hi:[0,0,1]
	v_pk_fma_f32 v[10:11], v[28:29], v[20:21], v[10:11] op_sel:[0,0,1] op_sel_hi:[0,1,0]
	v_pk_fma_f32 v[20:21], v[76:77], v[14:15], v[32:33] op_sel:[1,0,1] op_sel_hi:[1,1,0] neg_lo:[0,0,1] neg_hi:[0,0,1]
	v_pk_fma_f32 v[14:15], v[76:77], v[14:15], v[32:33] op_sel:[1,0,1] op_sel_hi:[1,1,0]
	;; [unrolled: 2-line block ×4, first 2 shown]
	v_mov_b32_e32 v40, v41
	v_mov_b32_e32 v42, v43
	;; [unrolled: 1-line block ×10, first 2 shown]
	v_pk_fma_f32 v[16:17], v[26:27], v[22:23], v[40:41] neg_lo:[0,0,1] neg_hi:[0,0,1]
	v_pk_fma_f32 v[2:3], v[2:3], v[24:25], v[42:43] neg_lo:[0,0,1] neg_hi:[0,0,1]
	v_pk_add_f32 v[0:1], v[20:21], v[44:45]
	v_pk_add_f32 v[8:9], v[18:19], v[28:29]
	;; [unrolled: 1-line block ×4, first 2 shown]
	v_pk_add_f32 v[10:11], v[20:21], v[44:45] neg_lo:[0,1] neg_hi:[0,1]
	v_pk_add_f32 v[14:15], v[18:19], v[28:29] neg_lo:[0,1] neg_hi:[0,1]
	v_mov_b32_e32 v19, v16
	v_mov_b32_e32 v21, v2
	;; [unrolled: 1-line block ×6, first 2 shown]
	v_pk_add_f32 v[28:29], v[4:5], v[6:7]
	v_pk_add_f32 v[2:3], v[2:3], v[16:17] neg_lo:[0,1] neg_hi:[0,1]
	v_pk_add_f32 v[16:17], v[18:19], v[20:21]
	v_mov_b32_e32 v22, v10
	v_mov_b32_e32 v25, v15
	v_pk_add_f32 v[30:31], v[14:15], v[10:11] neg_lo:[0,1] neg_hi:[0,1]
	v_mov_b32_e32 v23, v3
	v_mov_b32_e32 v24, v2
	v_pk_add_f32 v[18:19], v[2:3], v[14:15]
	v_mov_b32_e32 v26, v2
	v_mov_b32_e32 v2, v14
	v_pk_add_f32 v[14:15], v[16:17], v[28:29]
	v_mov_b32_e32 v16, v1
	v_mov_b32_e32 v29, v5
	;; [unrolled: 1-line block ×3, first 2 shown]
	v_pk_add_f32 v[20:21], v[22:23], v[24:25] neg_lo:[0,1] neg_hi:[0,1]
	v_pk_add_f32 v[22:23], v[16:17], v[28:29] neg_lo:[0,1] neg_hi:[0,1]
	v_mov_b32_e32 v29, v7
	v_mov_b32_e32 v16, v9
	v_pk_add_f32 v[2:3], v[26:27], v[2:3] neg_lo:[0,1] neg_hi:[0,1]
	v_pk_add_f32 v[16:17], v[28:29], v[16:17] neg_lo:[0,1] neg_hi:[0,1]
	v_pk_add_f32 v[10:11], v[18:19], v[10:11]
	v_pk_add_f32 v[18:19], v[74:75], v[14:15]
	v_pk_mul_f32 v[2:3], v[2:3], s[6:7]
	v_pk_mul_f32 v[16:17], v[16:17], s[14:15]
	;; [unrolled: 1-line block ×4, first 2 shown]
	v_pk_fma_f32 v[14:15], v[14:15], s[0:1], v[18:19] op_sel_hi:[1,0,1]
	v_pk_fma_f32 v[20:21], v[20:21], s[8:9], v[2:3]
	v_pk_fma_f32 v[22:23], v[22:23], s[16:17], v[16:17]
	v_pk_fma_f32 v[20:21], v[10:11], s[2:3], v[20:21] op_sel_hi:[1,0,1]
	v_pk_add_f32 v[22:23], v[22:23], v[14:15]
	v_mov_b32_e32 v4, v9
	v_mov_b32_e32 v6, v1
	;; [unrolled: 1-line block ×4, first 2 shown]
	v_pk_add_f32 v[32:33], v[22:23], v[20:21]
	v_pk_add_f32 v[20:21], v[22:23], v[20:21] neg_lo:[0,1] neg_hi:[0,1]
	v_pk_add_f32 v[0:1], v[4:5], v[6:7] neg_lo:[0,1] neg_hi:[0,1]
	v_mov_b32_e32 v4, v26
	v_mov_b32_e32 v5, v17
	;; [unrolled: 1-line block ×4, first 2 shown]
	v_pk_fma_f32 v[28:29], v[30:31], s[10:11], v[28:29] op_sel_hi:[1,0,1] neg_lo:[1,0,1] neg_hi:[1,0,1]
	v_mov_b32_e32 v22, v32
	v_mov_b32_e32 v23, v21
	v_pk_fma_f32 v[4:5], v[0:1], s[12:13], v[4:5] op_sel_hi:[1,0,1] neg_lo:[1,0,1] neg_hi:[1,0,1]
	v_pk_fma_f32 v[2:3], v[30:31], s[10:11], v[2:3] op_sel_hi:[1,0,1] neg_lo:[0,0,1] neg_hi:[0,0,1]
	;; [unrolled: 1-line block ×3, first 2 shown]
	ds_write2_b64 v13, v[18:19], v[22:23] offset0:29 offset1:245
	v_pk_fma_f32 v[18:19], v[10:11], s[2:3], v[28:29] op_sel_hi:[1,0,1]
	v_pk_add_f32 v[4:5], v[4:5], v[14:15]
	v_pk_fma_f32 v[2:3], v[10:11], s[2:3], v[2:3] op_sel_hi:[1,0,1]
	v_pk_add_f32 v[0:1], v[0:1], v[14:15]
	v_pk_add_f32 v[6:7], v[4:5], v[18:19]
	v_pk_add_f32 v[4:5], v[4:5], v[18:19] neg_lo:[0,1] neg_hi:[0,1]
	v_pk_add_f32 v[10:11], v[0:1], v[2:3] neg_lo:[0,1] neg_hi:[0,1]
	v_pk_add_f32 v[0:1], v[0:1], v[2:3]
	v_mov_b32_e32 v8, v6
	v_mov_b32_e32 v9, v5
	;; [unrolled: 1-line block ×4, first 2 shown]
	v_add_u32_e32 v1, 0x1300, v92
	ds_write2_b64 v1, v[8:9], v[2:3] offset0:13 offset1:229
	v_mov_b32_e32 v1, v11
	v_mov_b32_e32 v5, v7
	v_add_u32_e32 v2, 0x2000, v92
	v_mov_b32_e32 v21, v33
	ds_write2_b64 v2, v[0:1], v[4:5] offset0:29 offset1:245
	ds_write_b64 v92, v[20:21] offset:11880
.LBB0_17:
	s_or_b64 exec, exec, s[18:19]
	s_waitcnt lgkmcnt(0)
	; wave barrier
	s_waitcnt lgkmcnt(0)
	ds_read_b64 v[4:5], v92
	s_add_u32 s2, s4, 0x2f30
	s_addc_u32 s3, s5, 0
	v_sub_u32_e32 v6, 0, v49
	v_cmp_ne_u32_e64 s[0:1], 0, v48
                                        ; implicit-def: $vgpr2_vgpr3
                                        ; implicit-def: $vgpr1
	s_and_saveexec_b64 s[4:5], s[0:1]
	s_xor_b64 s[0:1], exec, s[4:5]
	s_cbranch_execz .LBB0_19
; %bb.18:
	v_mov_b32_e32 v49, 0
	v_lshl_add_u64 v[0:1], v[48:49], 3, s[2:3]
	global_load_dwordx2 v[2:3], v[0:1], off
	ds_read_b64 v[0:1], v6 offset:12096
	v_mov_b32_e32 v9, 0.5
	v_mov_b32_e32 v10, v9
	s_waitcnt lgkmcnt(0)
	v_pk_add_f32 v[14:15], v[0:1], v[4:5]
	v_pk_add_f32 v[0:1], v[4:5], v[0:1] neg_lo:[0,1] neg_hi:[0,1]
	v_mov_b32_e32 v4, v15
	v_mov_b32_e32 v5, v0
	v_pk_mul_f32 v[4:5], v[4:5], 0.5 op_sel_hi:[1,0]
	s_waitcnt vmcnt(0)
	v_mov_b32_e32 v8, v3
	v_mov_b32_e32 v0, v5
	;; [unrolled: 1-line block ×4, first 2 shown]
	v_pk_mul_f32 v[0:1], v[8:9], v[0:1]
	v_pk_mul_f32 v[16:17], v[2:3], v[4:5] op_sel_hi:[0,1]
	v_pk_fma_f32 v[8:9], v[14:15], v[10:11], v[0:1]
	v_pk_fma_f32 v[10:11], v[14:15], v[10:11], v[0:1] neg_lo:[0,0,1] neg_hi:[0,0,1]
	v_add_f32_e32 v0, v16, v8
	v_sub_f32_e32 v1, v9, v17
	ds_write_b32 v92, v0
	v_pk_fma_f32 v[2:3], v[2:3], v[4:5], v[10:11] op_sel_hi:[0,1,1] neg_lo:[1,0,0] neg_hi:[1,0,0]
                                        ; implicit-def: $vgpr4_vgpr5
.LBB0_19:
	s_or_saveexec_b64 s[0:1], s[0:1]
	v_sub_u32_e32 v15, 0, v69
	v_sub_u32_e32 v14, 0, v71
	;; [unrolled: 1-line block ×8, first 2 shown]
	s_xor_b64 exec, exec, s[0:1]
	s_cbranch_execz .LBB0_21
; %bb.20:
	s_waitcnt lgkmcnt(0)
	v_mov_b32_e32 v0, v5
	v_pk_add_f32 v[0:1], v[4:5], v[0:1] neg_lo:[0,1] neg_hi:[0,1]
	v_add_f32_e32 v3, v5, v4
	v_mov_b32_e32 v1, 0
	ds_read_b32 v2, v1 offset:6052
	ds_write_b32 v92, v3
	s_waitcnt lgkmcnt(1)
	v_xor_b32_e32 v2, 0x80000000, v2
	ds_write_b32 v1, v2 offset:6052
	v_mov_b64_e32 v[2:3], v[0:1]
.LBB0_21:
	s_or_b64 exec, exec, s[0:1]
	v_mov_b32_e32 v51, 0
	s_waitcnt lgkmcnt(0)
	v_lshl_add_u64 v[4:5], v[50:51], 3, s[2:3]
	global_load_dwordx2 v[4:5], v[4:5], off
	v_mov_b32_e32 v73, v51
	v_lshl_add_u64 v[16:17], v[72:73], 3, s[2:3]
	global_load_dwordx2 v[16:17], v[16:17], off
	v_mov_b32_e32 v71, v51
	;; [unrolled: 3-line block ×3, first 2 shown]
	ds_write_b32 v92, v1 offset:4
	ds_write_b64 v6, v[2:3] offset:12096
	v_lshl_add_u64 v[2:3], v[64:65], 3, s[2:3]
	global_load_dwordx2 v[2:3], v[2:3], off
	v_mov_b32_e32 v69, v51
	v_lshl_add_u64 v[34:35], v[68:69], 3, s[2:3]
	v_add_u32_e32 v31, v61, v15
	v_add_u32_e32 v33, v59, v14
	ds_read_b64 v[14:15], v96
	ds_read_b64 v[20:21], v6 offset:11592
	global_load_dwordx2 v[34:35], v[34:35], off
	v_mov_b32_e32 v1, 0.5
	v_mov_b32_e32 v22, v1
	v_mov_b32_e32 v63, v51
	s_waitcnt lgkmcnt(0)
	v_pk_add_f32 v[36:37], v[14:15], v[20:21]
	v_pk_add_f32 v[14:15], v[14:15], v[20:21] neg_lo:[0,1] neg_hi:[0,1]
	v_mov_b32_e32 v20, v37
	v_mov_b32_e32 v21, v14
	v_pk_mul_f32 v[20:21], v[20:21], 0.5 op_sel_hi:[1,0]
	v_mov_b32_e32 v24, v1
	v_mov_b32_e32 v14, v21
	;; [unrolled: 1-line block ×3, first 2 shown]
	v_add_u32_e32 v40, v67, v13
	v_mov_b32_e32 v67, v51
	v_mov_b32_e32 v26, v1
	;; [unrolled: 1-line block ×7, first 2 shown]
	v_add_u32_e32 v11, v57, v11
	v_mov_b32_e32 v57, v51
	v_add_u32_e32 v9, v95, v9
	v_add_u32_e32 v7, v93, v7
	s_waitcnt vmcnt(4)
	v_mov_b32_e32 v0, v5
	v_mov_b32_e32 v23, v5
	v_pk_mul_f32 v[14:15], v[0:1], v[14:15]
	s_waitcnt vmcnt(3)
	v_mov_b32_e32 v0, v17
	v_pk_fma_f32 v[38:39], v[36:37], v[22:23], v[14:15]
	v_pk_fma_f32 v[14:15], v[36:37], v[22:23], v[14:15] neg_lo:[0,0,1] neg_hi:[0,0,1]
	v_pk_fma_f32 v[22:23], v[4:5], v[20:21], v[38:39]
	v_pk_fma_f32 v[36:37], v[4:5], v[20:21], v[38:39] op_sel_hi:[0,1,1] neg_lo:[1,0,0] neg_hi:[1,0,0]
	v_mov_b32_e32 v23, v37
	v_pk_fma_f32 v[4:5], v[4:5], v[20:21], v[14:15] op_sel_hi:[0,1,1] neg_lo:[1,0,0] neg_hi:[1,0,0]
	ds_write_b64 v96, v[22:23]
	ds_write_b64 v6, v[4:5] offset:11592
	v_lshl_add_u64 v[20:21], v[62:63], 3, s[2:3]
	ds_read_b64 v[4:5], v12
	ds_read_b64 v[14:15], v6 offset:11088
	global_load_dwordx2 v[20:21], v[20:21], off
	v_mov_b32_e32 v25, v17
	s_waitcnt vmcnt(3)
	v_mov_b32_e32 v27, v19
	s_waitcnt vmcnt(2)
	v_mov_b32_e32 v29, v3
	s_waitcnt lgkmcnt(0)
	v_pk_add_f32 v[22:23], v[4:5], v[14:15]
	v_pk_add_f32 v[4:5], v[4:5], v[14:15] neg_lo:[0,1] neg_hi:[0,1]
	v_mov_b32_e32 v14, v23
	v_mov_b32_e32 v15, v4
	v_pk_mul_f32 v[14:15], v[14:15], 0.5 op_sel_hi:[1,0]
	s_nop 0
	v_mov_b32_e32 v4, v15
	v_mov_b32_e32 v23, v14
	v_pk_mul_f32 v[4:5], v[0:1], v[4:5]
	v_mov_b32_e32 v0, v19
	v_pk_fma_f32 v[36:37], v[22:23], v[24:25], v[4:5]
	v_pk_fma_f32 v[4:5], v[22:23], v[24:25], v[4:5] neg_lo:[0,0,1] neg_hi:[0,0,1]
	v_pk_fma_f32 v[22:23], v[16:17], v[14:15], v[36:37]
	v_pk_fma_f32 v[24:25], v[16:17], v[14:15], v[36:37] op_sel_hi:[0,1,1] neg_lo:[1,0,0] neg_hi:[1,0,0]
	v_mov_b32_e32 v23, v25
	v_pk_fma_f32 v[4:5], v[16:17], v[14:15], v[4:5] op_sel_hi:[0,1,1] neg_lo:[1,0,0] neg_hi:[1,0,0]
	ds_write_b64 v12, v[22:23]
	ds_write_b64 v6, v[4:5] offset:11088
	v_lshl_add_u64 v[14:15], v[66:67], 3, s[2:3]
	ds_read_b64 v[4:5], v102
	ds_read_b64 v[12:13], v6 offset:10584
	global_load_dwordx2 v[14:15], v[14:15], off
	s_waitcnt lgkmcnt(0)
	v_pk_add_f32 v[16:17], v[4:5], v[12:13]
	v_pk_add_f32 v[4:5], v[4:5], v[12:13] neg_lo:[0,1] neg_hi:[0,1]
	v_mov_b32_e32 v12, v17
	v_mov_b32_e32 v13, v4
	v_pk_mul_f32 v[12:13], v[12:13], 0.5 op_sel_hi:[1,0]
	s_nop 0
	v_mov_b32_e32 v4, v13
	v_mov_b32_e32 v17, v12
	v_pk_mul_f32 v[4:5], v[0:1], v[4:5]
	v_mov_b32_e32 v0, v3
	v_pk_fma_f32 v[22:23], v[16:17], v[26:27], v[4:5]
	v_pk_fma_f32 v[4:5], v[16:17], v[26:27], v[4:5] neg_lo:[0,0,1] neg_hi:[0,0,1]
	v_pk_fma_f32 v[16:17], v[18:19], v[12:13], v[22:23]
	v_pk_fma_f32 v[22:23], v[18:19], v[12:13], v[22:23] op_sel_hi:[0,1,1] neg_lo:[1,0,0] neg_hi:[1,0,0]
	v_mov_b32_e32 v17, v23
	v_pk_fma_f32 v[4:5], v[18:19], v[12:13], v[4:5] op_sel_hi:[0,1,1] neg_lo:[1,0,0] neg_hi:[1,0,0]
	ds_write_b64 v102, v[16:17]
	ds_write_b64 v6, v[4:5] offset:10584
	ds_read_b64 v[4:5], v31
	ds_read_b64 v[12:13], v6 offset:10080
	s_waitcnt lgkmcnt(0)
	v_pk_add_f32 v[16:17], v[4:5], v[12:13]
	v_pk_add_f32 v[4:5], v[4:5], v[12:13] neg_lo:[0,1] neg_hi:[0,1]
	v_mov_b32_e32 v12, v17
	v_mov_b32_e32 v13, v4
	v_pk_mul_f32 v[12:13], v[12:13], 0.5 op_sel_hi:[1,0]
	s_nop 0
	v_mov_b32_e32 v4, v13
	v_mov_b32_e32 v17, v12
	v_pk_mul_f32 v[4:5], v[0:1], v[4:5]
	s_waitcnt vmcnt(2)
	v_mov_b32_e32 v0, v35
	v_pk_fma_f32 v[18:19], v[16:17], v[28:29], v[4:5]
	v_pk_fma_f32 v[4:5], v[16:17], v[28:29], v[4:5] neg_lo:[0,0,1] neg_hi:[0,0,1]
	v_pk_fma_f32 v[16:17], v[2:3], v[12:13], v[18:19]
	v_pk_fma_f32 v[18:19], v[2:3], v[12:13], v[18:19] op_sel_hi:[0,1,1] neg_lo:[1,0,0] neg_hi:[1,0,0]
	v_mov_b32_e32 v17, v19
	v_pk_fma_f32 v[2:3], v[2:3], v[12:13], v[4:5] op_sel_hi:[0,1,1] neg_lo:[1,0,0] neg_hi:[1,0,0]
	ds_write_b64 v31, v[16:17]
	ds_write_b64 v6, v[2:3] offset:10080
	ds_read_b64 v[2:3], v33
	ds_read_b64 v[4:5], v6 offset:9576
	v_lshl_add_u64 v[12:13], v[60:61], 3, s[2:3]
	global_load_dwordx2 v[12:13], v[12:13], off
	v_mov_b32_e32 v31, v35
	s_waitcnt lgkmcnt(0)
	v_pk_add_f32 v[16:17], v[2:3], v[4:5]
	v_pk_add_f32 v[2:3], v[2:3], v[4:5] neg_lo:[0,1] neg_hi:[0,1]
	v_mov_b32_e32 v4, v17
	v_mov_b32_e32 v5, v2
	v_pk_mul_f32 v[4:5], v[4:5], 0.5 op_sel_hi:[1,0]
	s_nop 0
	v_mov_b32_e32 v2, v5
	v_mov_b32_e32 v17, v4
	v_pk_mul_f32 v[2:3], v[0:1], v[2:3]
	s_waitcnt vmcnt(2)
	v_mov_b32_e32 v0, v21
	v_pk_fma_f32 v[18:19], v[16:17], v[30:31], v[2:3]
	v_pk_fma_f32 v[2:3], v[16:17], v[30:31], v[2:3] neg_lo:[0,0,1] neg_hi:[0,0,1]
	v_pk_fma_f32 v[16:17], v[34:35], v[4:5], v[18:19]
	v_pk_fma_f32 v[18:19], v[34:35], v[4:5], v[18:19] op_sel_hi:[0,1,1] neg_lo:[1,0,0] neg_hi:[1,0,0]
	v_mov_b32_e32 v17, v19
	v_pk_fma_f32 v[2:3], v[34:35], v[4:5], v[2:3] op_sel_hi:[0,1,1] neg_lo:[1,0,0] neg_hi:[1,0,0]
	ds_write_b64 v33, v[16:17]
	ds_write_b64 v6, v[2:3] offset:9576
	ds_read_b64 v[2:3], v40
	ds_read_b64 v[4:5], v6 offset:9072
	v_lshl_add_u64 v[16:17], v[58:59], 3, s[2:3]
	global_load_dwordx2 v[16:17], v[16:17], off
	v_mov_b32_e32 v33, v21
	;; [unrolled: 25-line block ×3, first 2 shown]
	v_mov_b32_e32 v23, v15
	s_waitcnt lgkmcnt(0)
	v_pk_add_f32 v[18:19], v[2:3], v[4:5]
	v_pk_add_f32 v[2:3], v[2:3], v[4:5] neg_lo:[0,1] neg_hi:[0,1]
	v_mov_b32_e32 v4, v19
	v_mov_b32_e32 v5, v2
	v_pk_mul_f32 v[4:5], v[4:5], 0.5 op_sel_hi:[1,0]
	s_nop 0
	v_mov_b32_e32 v2, v5
	v_pk_mul_f32 v[2:3], v[0:1], v[2:3]
	v_mov_b32_e32 v19, v4
	v_pk_fma_f32 v[24:25], v[18:19], v[22:23], v[2:3]
	v_pk_fma_f32 v[2:3], v[18:19], v[22:23], v[2:3] neg_lo:[0,0,1] neg_hi:[0,0,1]
	v_pk_fma_f32 v[26:27], v[14:15], v[4:5], v[24:25]
	v_pk_fma_f32 v[24:25], v[14:15], v[4:5], v[24:25] op_sel_hi:[0,1,1] neg_lo:[1,0,0] neg_hi:[1,0,0]
	v_mov_b32_e32 v27, v25
	ds_write_b64 v11, v[26:27]
	v_pk_fma_f32 v[2:3], v[14:15], v[4:5], v[2:3] op_sel_hi:[0,1,1] neg_lo:[1,0,0] neg_hi:[1,0,0]
	v_add_u32_e32 v26, v55, v10
	v_mov_b32_e32 v55, v51
	ds_write_b64 v6, v[2:3] offset:8568
	v_lshl_add_u64 v[14:15], v[54:55], 3, s[2:3]
	ds_read_b64 v[2:3], v26
	ds_read_b64 v[4:5], v6 offset:8064
	global_load_dwordx2 v[14:15], v[14:15], off
	v_mov_b32_e32 v18, v1
	s_waitcnt lgkmcnt(0)
	v_pk_add_f32 v[10:11], v[2:3], v[4:5]
	v_pk_add_f32 v[2:3], v[2:3], v[4:5] neg_lo:[0,1] neg_hi:[0,1]
	v_mov_b32_e32 v4, v11
	v_mov_b32_e32 v5, v2
	v_pk_mul_f32 v[4:5], v[4:5], 0.5 op_sel_hi:[1,0]
	s_waitcnt vmcnt(3)
	v_mov_b32_e32 v0, v13
	v_mov_b32_e32 v2, v5
	v_pk_mul_f32 v[2:3], v[0:1], v[2:3]
	v_mov_b32_e32 v11, v4
	v_mov_b32_e32 v19, v13
	v_pk_fma_f32 v[22:23], v[10:11], v[18:19], v[2:3]
	v_pk_fma_f32 v[2:3], v[10:11], v[18:19], v[2:3] neg_lo:[0,0,1] neg_hi:[0,0,1]
	v_pk_fma_f32 v[24:25], v[12:13], v[4:5], v[22:23]
	v_pk_fma_f32 v[22:23], v[12:13], v[4:5], v[22:23] op_sel_hi:[0,1,1] neg_lo:[1,0,0] neg_hi:[1,0,0]
	v_mov_b32_e32 v25, v23
	v_pk_fma_f32 v[2:3], v[12:13], v[4:5], v[2:3] op_sel_hi:[0,1,1] neg_lo:[1,0,0] neg_hi:[1,0,0]
	ds_write_b64 v26, v[24:25]
	ds_write_b64 v6, v[2:3] offset:8064
	ds_read_b64 v[2:3], v9
	ds_read_b64 v[4:5], v6 offset:7560
	v_mov_b32_e32 v12, v1
	s_waitcnt lgkmcnt(0)
	v_pk_add_f32 v[10:11], v[2:3], v[4:5]
	v_pk_add_f32 v[2:3], v[2:3], v[4:5] neg_lo:[0,1] neg_hi:[0,1]
	v_mov_b32_e32 v4, v11
	v_mov_b32_e32 v5, v2
	v_pk_mul_f32 v[4:5], v[4:5], 0.5 op_sel_hi:[1,0]
	s_waitcnt vmcnt(2)
	v_mov_b32_e32 v0, v17
	v_mov_b32_e32 v2, v5
	v_pk_mul_f32 v[2:3], v[0:1], v[2:3]
	v_mov_b32_e32 v11, v4
	v_mov_b32_e32 v13, v17
	v_pk_fma_f32 v[18:19], v[10:11], v[12:13], v[2:3]
	v_pk_fma_f32 v[2:3], v[10:11], v[12:13], v[2:3] neg_lo:[0,0,1] neg_hi:[0,0,1]
	v_pk_fma_f32 v[22:23], v[16:17], v[4:5], v[18:19]
	v_pk_fma_f32 v[18:19], v[16:17], v[4:5], v[18:19] op_sel_hi:[0,1,1] neg_lo:[1,0,0] neg_hi:[1,0,0]
	v_mov_b32_e32 v23, v19
	v_pk_fma_f32 v[2:3], v[16:17], v[4:5], v[2:3] op_sel_hi:[0,1,1] neg_lo:[1,0,0] neg_hi:[1,0,0]
	ds_write_b64 v9, v[22:23]
	ds_write_b64 v6, v[2:3] offset:7560
	v_add_u32_e32 v18, v94, v8
	ds_read_b64 v[2:3], v18
	ds_read_b64 v[4:5], v6 offset:7056
	v_mov_b32_e32 v10, v1
	s_waitcnt lgkmcnt(0)
	v_pk_add_f32 v[8:9], v[2:3], v[4:5]
	v_pk_add_f32 v[2:3], v[2:3], v[4:5] neg_lo:[0,1] neg_hi:[0,1]
	v_mov_b32_e32 v4, v9
	v_mov_b32_e32 v5, v2
	v_pk_mul_f32 v[4:5], v[4:5], 0.5 op_sel_hi:[1,0]
	s_waitcnt vmcnt(1)
	v_mov_b32_e32 v0, v21
	v_mov_b32_e32 v2, v5
	v_pk_mul_f32 v[2:3], v[0:1], v[2:3]
	v_mov_b32_e32 v9, v4
	v_mov_b32_e32 v11, v21
	v_pk_fma_f32 v[12:13], v[8:9], v[10:11], v[2:3]
	v_pk_fma_f32 v[2:3], v[8:9], v[10:11], v[2:3] neg_lo:[0,0,1] neg_hi:[0,0,1]
	v_pk_fma_f32 v[16:17], v[20:21], v[4:5], v[12:13]
	v_pk_fma_f32 v[12:13], v[20:21], v[4:5], v[12:13] op_sel_hi:[0,1,1] neg_lo:[1,0,0] neg_hi:[1,0,0]
	v_mov_b32_e32 v17, v13
	v_pk_fma_f32 v[2:3], v[20:21], v[4:5], v[2:3] op_sel_hi:[0,1,1] neg_lo:[1,0,0] neg_hi:[1,0,0]
	ds_write_b64 v18, v[16:17]
	ds_write_b64 v6, v[2:3] offset:7056
	ds_read_b64 v[2:3], v7
	ds_read_b64 v[4:5], v6 offset:6552
	s_waitcnt lgkmcnt(0)
	v_pk_add_f32 v[8:9], v[2:3], v[4:5]
	v_pk_add_f32 v[2:3], v[2:3], v[4:5] neg_lo:[0,1] neg_hi:[0,1]
	v_mov_b32_e32 v4, v9
	v_mov_b32_e32 v5, v2
	v_pk_mul_f32 v[4:5], v[4:5], 0.5 op_sel_hi:[1,0]
	s_waitcnt vmcnt(0)
	v_mov_b32_e32 v0, v15
	v_mov_b32_e32 v2, v5
	v_pk_mul_f32 v[2:3], v[0:1], v[2:3]
	v_mov_b32_e32 v9, v4
	v_mov_b32_e32 v0, v1
	;; [unrolled: 1-line block ×3, first 2 shown]
	v_pk_fma_f32 v[10:11], v[8:9], v[0:1], v[2:3]
	v_pk_fma_f32 v[0:1], v[8:9], v[0:1], v[2:3] neg_lo:[0,0,1] neg_hi:[0,0,1]
	v_pk_fma_f32 v[12:13], v[14:15], v[4:5], v[10:11]
	v_pk_fma_f32 v[10:11], v[14:15], v[4:5], v[10:11] op_sel_hi:[0,1,1] neg_lo:[1,0,0] neg_hi:[1,0,0]
	v_mov_b32_e32 v13, v11
	v_pk_fma_f32 v[0:1], v[14:15], v[4:5], v[0:1] op_sel_hi:[0,1,1] neg_lo:[1,0,0] neg_hi:[1,0,0]
	ds_write_b64 v7, v[12:13]
	ds_write_b64 v6, v[0:1] offset:6552
	s_waitcnt lgkmcnt(0)
	; wave barrier
	s_waitcnt lgkmcnt(0)
	s_and_saveexec_b64 s[0:1], vcc
	s_cbranch_execz .LBB0_24
; %bb.22:
	ds_read2_b64 v[0:3], v92 offset1:63
	ds_read2_b64 v[4:7], v92 offset0:126 offset1:189
	v_mov_b32_e32 v49, v51
	v_lshl_add_u64 v[12:13], v[48:49], 3, v[52:53]
	v_add_u32_e32 v8, 0xc00, v92
	s_movk_i32 s0, 0x1000
	s_waitcnt lgkmcnt(1)
	global_store_dwordx2 v[12:13], v[0:1], off
	global_store_dwordx2 v[12:13], v[2:3], off offset:504
	s_waitcnt lgkmcnt(0)
	global_store_dwordx2 v[12:13], v[4:5], off offset:1008
	global_store_dwordx2 v[12:13], v[6:7], off offset:1512
	v_add_u32_e32 v0, 0x400, v92
	ds_read2_b64 v[0:3], v0 offset0:124 offset1:187
	v_add_u32_e32 v4, 0x800, v92
	ds_read2_b64 v[4:7], v4 offset0:122 offset1:185
	ds_read2_b64 v[8:11], v8 offset0:120 offset1:183
	s_waitcnt lgkmcnt(2)
	global_store_dwordx2 v[12:13], v[0:1], off offset:2016
	global_store_dwordx2 v[12:13], v[2:3], off offset:2520
	s_waitcnt lgkmcnt(1)
	global_store_dwordx2 v[12:13], v[4:5], off offset:3024
	global_store_dwordx2 v[12:13], v[6:7], off offset:3528
	s_waitcnt lgkmcnt(0)
	global_store_dwordx2 v[12:13], v[8:9], off offset:4032
	v_add_u32_e32 v0, 0x1000, v92
	ds_read2_b64 v[0:3], v0 offset0:118 offset1:181
	v_add_co_u32_e32 v14, vcc, s0, v12
	v_add_u32_e32 v4, 0x1800, v92
	s_nop 0
	v_addc_co_u32_e32 v15, vcc, 0, v13, vcc
	global_store_dwordx2 v[14:15], v[10:11], off offset:440
	s_waitcnt lgkmcnt(0)
	global_store_dwordx2 v[14:15], v[0:1], off offset:944
	global_store_dwordx2 v[14:15], v[2:3], off offset:1448
	v_add_u32_e32 v0, 0x1400, v92
	ds_read2_b64 v[0:3], v0 offset0:116 offset1:179
	ds_read2_b64 v[4:7], v4 offset0:114 offset1:177
	v_add_u32_e32 v8, 0x1c00, v92
	ds_read2_b64 v[8:11], v8 offset0:112 offset1:175
	s_waitcnt lgkmcnt(2)
	global_store_dwordx2 v[14:15], v[0:1], off offset:1952
	global_store_dwordx2 v[14:15], v[2:3], off offset:2456
	s_waitcnt lgkmcnt(1)
	global_store_dwordx2 v[14:15], v[4:5], off offset:2960
	global_store_dwordx2 v[14:15], v[6:7], off offset:3464
	s_waitcnt lgkmcnt(0)
	global_store_dwordx2 v[14:15], v[8:9], off offset:3968
	v_add_u32_e32 v0, 0x2000, v92
	ds_read2_b64 v[0:3], v0 offset0:110 offset1:173
	s_movk_i32 s0, 0x2000
	v_add_u32_e32 v4, 0x2400, v92
	v_add_co_u32_e32 v12, vcc, s0, v12
	ds_read2_b64 v[4:7], v4 offset0:108 offset1:171
	s_nop 0
	v_addc_co_u32_e32 v13, vcc, 0, v13, vcc
	v_add_u32_e32 v8, 0x2800, v92
	global_store_dwordx2 v[12:13], v[10:11], off offset:376
	ds_read2_b64 v[8:11], v8 offset0:106 offset1:169
	v_cmp_eq_u32_e32 vcc, 62, v48
	s_waitcnt lgkmcnt(2)
	global_store_dwordx2 v[12:13], v[0:1], off offset:880
	global_store_dwordx2 v[12:13], v[2:3], off offset:1384
	s_waitcnt lgkmcnt(1)
	global_store_dwordx2 v[12:13], v[4:5], off offset:1888
	global_store_dwordx2 v[12:13], v[6:7], off offset:2392
	;; [unrolled: 3-line block ×3, first 2 shown]
	s_and_b64 exec, exec, vcc
	s_cbranch_execz .LBB0_24
; %bb.23:
	v_mov_b32_e32 v0, 0
	ds_read_b64 v[0:1], v0 offset:12096
	v_add_co_u32_e32 v2, vcc, 0x2000, v52
	s_nop 1
	v_addc_co_u32_e32 v3, vcc, 0, v53, vcc
	s_waitcnt lgkmcnt(0)
	global_store_dwordx2 v[2:3], v[0:1], off offset:3904
.LBB0_24:
	s_endpgm
	.section	.rodata,"a",@progbits
	.p2align	6, 0x0
	.amdhsa_kernel fft_rtc_back_len1512_factors_2_2_2_3_3_3_7_wgs_63_tpt_63_halfLds_sp_ip_CI_unitstride_sbrr_R2C_dirReg
		.amdhsa_group_segment_fixed_size 0
		.amdhsa_private_segment_fixed_size 0
		.amdhsa_kernarg_size 88
		.amdhsa_user_sgpr_count 2
		.amdhsa_user_sgpr_dispatch_ptr 0
		.amdhsa_user_sgpr_queue_ptr 0
		.amdhsa_user_sgpr_kernarg_segment_ptr 1
		.amdhsa_user_sgpr_dispatch_id 0
		.amdhsa_user_sgpr_kernarg_preload_length 0
		.amdhsa_user_sgpr_kernarg_preload_offset 0
		.amdhsa_user_sgpr_private_segment_size 0
		.amdhsa_uses_dynamic_stack 0
		.amdhsa_enable_private_segment 0
		.amdhsa_system_sgpr_workgroup_id_x 1
		.amdhsa_system_sgpr_workgroup_id_y 0
		.amdhsa_system_sgpr_workgroup_id_z 0
		.amdhsa_system_sgpr_workgroup_info 0
		.amdhsa_system_vgpr_workitem_id 0
		.amdhsa_next_free_vgpr 180
		.amdhsa_next_free_sgpr 22
		.amdhsa_accum_offset 180
		.amdhsa_reserve_vcc 1
		.amdhsa_float_round_mode_32 0
		.amdhsa_float_round_mode_16_64 0
		.amdhsa_float_denorm_mode_32 3
		.amdhsa_float_denorm_mode_16_64 3
		.amdhsa_dx10_clamp 1
		.amdhsa_ieee_mode 1
		.amdhsa_fp16_overflow 0
		.amdhsa_tg_split 0
		.amdhsa_exception_fp_ieee_invalid_op 0
		.amdhsa_exception_fp_denorm_src 0
		.amdhsa_exception_fp_ieee_div_zero 0
		.amdhsa_exception_fp_ieee_overflow 0
		.amdhsa_exception_fp_ieee_underflow 0
		.amdhsa_exception_fp_ieee_inexact 0
		.amdhsa_exception_int_div_zero 0
	.end_amdhsa_kernel
	.text
.Lfunc_end0:
	.size	fft_rtc_back_len1512_factors_2_2_2_3_3_3_7_wgs_63_tpt_63_halfLds_sp_ip_CI_unitstride_sbrr_R2C_dirReg, .Lfunc_end0-fft_rtc_back_len1512_factors_2_2_2_3_3_3_7_wgs_63_tpt_63_halfLds_sp_ip_CI_unitstride_sbrr_R2C_dirReg
                                        ; -- End function
	.section	.AMDGPU.csdata,"",@progbits
; Kernel info:
; codeLenInByte = 16972
; NumSgprs: 28
; NumVgprs: 180
; NumAgprs: 0
; TotalNumVgprs: 180
; ScratchSize: 0
; MemoryBound: 0
; FloatMode: 240
; IeeeMode: 1
; LDSByteSize: 0 bytes/workgroup (compile time only)
; SGPRBlocks: 3
; VGPRBlocks: 22
; NumSGPRsForWavesPerEU: 28
; NumVGPRsForWavesPerEU: 180
; AccumOffset: 180
; Occupancy: 2
; WaveLimiterHint : 1
; COMPUTE_PGM_RSRC2:SCRATCH_EN: 0
; COMPUTE_PGM_RSRC2:USER_SGPR: 2
; COMPUTE_PGM_RSRC2:TRAP_HANDLER: 0
; COMPUTE_PGM_RSRC2:TGID_X_EN: 1
; COMPUTE_PGM_RSRC2:TGID_Y_EN: 0
; COMPUTE_PGM_RSRC2:TGID_Z_EN: 0
; COMPUTE_PGM_RSRC2:TIDIG_COMP_CNT: 0
; COMPUTE_PGM_RSRC3_GFX90A:ACCUM_OFFSET: 44
; COMPUTE_PGM_RSRC3_GFX90A:TG_SPLIT: 0
	.text
	.p2alignl 6, 3212836864
	.fill 256, 4, 3212836864
	.type	__hip_cuid_932828eb20688d19,@object ; @__hip_cuid_932828eb20688d19
	.section	.bss,"aw",@nobits
	.globl	__hip_cuid_932828eb20688d19
__hip_cuid_932828eb20688d19:
	.byte	0                               ; 0x0
	.size	__hip_cuid_932828eb20688d19, 1

	.ident	"AMD clang version 19.0.0git (https://github.com/RadeonOpenCompute/llvm-project roc-6.4.0 25133 c7fe45cf4b819c5991fe208aaa96edf142730f1d)"
	.section	".note.GNU-stack","",@progbits
	.addrsig
	.addrsig_sym __hip_cuid_932828eb20688d19
	.amdgpu_metadata
---
amdhsa.kernels:
  - .agpr_count:     0
    .args:
      - .actual_access:  read_only
        .address_space:  global
        .offset:         0
        .size:           8
        .value_kind:     global_buffer
      - .offset:         8
        .size:           8
        .value_kind:     by_value
      - .actual_access:  read_only
        .address_space:  global
        .offset:         16
        .size:           8
        .value_kind:     global_buffer
      - .actual_access:  read_only
        .address_space:  global
        .offset:         24
        .size:           8
        .value_kind:     global_buffer
      - .offset:         32
        .size:           8
        .value_kind:     by_value
      - .actual_access:  read_only
        .address_space:  global
        .offset:         40
        .size:           8
        .value_kind:     global_buffer
      - .actual_access:  read_only
        .address_space:  global
        .offset:         48
        .size:           8
        .value_kind:     global_buffer
      - .offset:         56
        .size:           4
        .value_kind:     by_value
      - .actual_access:  read_only
        .address_space:  global
        .offset:         64
        .size:           8
        .value_kind:     global_buffer
      - .actual_access:  read_only
        .address_space:  global
        .offset:         72
        .size:           8
        .value_kind:     global_buffer
      - .address_space:  global
        .offset:         80
        .size:           8
        .value_kind:     global_buffer
    .group_segment_fixed_size: 0
    .kernarg_segment_align: 8
    .kernarg_segment_size: 88
    .language:       OpenCL C
    .language_version:
      - 2
      - 0
    .max_flat_workgroup_size: 63
    .name:           fft_rtc_back_len1512_factors_2_2_2_3_3_3_7_wgs_63_tpt_63_halfLds_sp_ip_CI_unitstride_sbrr_R2C_dirReg
    .private_segment_fixed_size: 0
    .sgpr_count:     28
    .sgpr_spill_count: 0
    .symbol:         fft_rtc_back_len1512_factors_2_2_2_3_3_3_7_wgs_63_tpt_63_halfLds_sp_ip_CI_unitstride_sbrr_R2C_dirReg.kd
    .uniform_work_group_size: 1
    .uses_dynamic_stack: false
    .vgpr_count:     180
    .vgpr_spill_count: 0
    .wavefront_size: 64
amdhsa.target:   amdgcn-amd-amdhsa--gfx950
amdhsa.version:
  - 1
  - 2
...

	.end_amdgpu_metadata
